;; amdgpu-corpus repo=ROCm/rocFFT kind=compiled arch=gfx906 opt=O3
	.text
	.amdgcn_target "amdgcn-amd-amdhsa--gfx906"
	.amdhsa_code_object_version 6
	.protected	bluestein_single_back_len10752_dim1_half_op_CI_CI ; -- Begin function bluestein_single_back_len10752_dim1_half_op_CI_CI
	.globl	bluestein_single_back_len10752_dim1_half_op_CI_CI
	.p2align	8
	.type	bluestein_single_back_len10752_dim1_half_op_CI_CI,@function
bluestein_single_back_len10752_dim1_half_op_CI_CI: ; @bluestein_single_back_len10752_dim1_half_op_CI_CI
; %bb.0:
	s_load_dwordx4 s[12:15], s[4:5], 0x28
	s_mov_b64 s[30:31], s[2:3]
	s_mov_b64 s[28:29], s[0:1]
	s_add_u32 s28, s28, s7
	s_mov_b32 s7, 0
	s_waitcnt lgkmcnt(0)
	v_mov_b32_e32 v1, s12
	v_mov_b32_e32 v2, s13
	v_cmp_lt_u64_e32 vcc, s[6:7], v[1:2]
	s_addc_u32 s29, s29, 0
	s_and_saveexec_b64 s[0:1], vcc
	s_cbranch_execz .LBB0_33
; %bb.1:
	s_load_dwordx4 s[0:3], s[4:5], 0x18
	v_mov_b32_e32 v6, s6
	v_mov_b32_e32 v7, s7
	s_load_dwordx2 s[6:7], s[4:5], 0x0
	v_mov_b32_e32 v5, v6
	s_waitcnt lgkmcnt(0)
	s_load_dwordx4 s[8:11], s[0:1], 0x0
	v_lshlrev_b32_e32 v70, 2, v0
	v_or_b32_e32 v21, 0x400, v0
	v_or_b32_e32 v65, 0x600, v0
	;; [unrolled: 1-line block ×3, first 2 shown]
	s_waitcnt lgkmcnt(0)
	v_mad_u64_u32 v[1:2], s[0:1], s10, v6, 0
	buffer_store_dword v5, off, s[28:31], 0 offset:52 ; 4-byte Folded Spill
	s_nop 0
	buffer_store_dword v6, off, s[28:31], 0 offset:56 ; 4-byte Folded Spill
	v_mad_u64_u32 v[3:4], s[0:1], s8, v0, 0
	global_load_dword v91, v70, s[6:7]
	v_mov_b32_e32 v22, 0
	v_mad_u64_u32 v[5:6], s[0:1], s11, v6, v[2:3]
	v_mad_u64_u32 v[6:7], s[0:1], s9, v0, v[4:5]
	v_mov_b32_e32 v2, v5
	v_lshlrev_b64 v[1:2], 2, v[1:2]
	v_mov_b32_e32 v4, v6
	v_mov_b32_e32 v7, s15
	v_lshlrev_b64 v[3:4], 2, v[3:4]
	v_add_co_u32_e32 v1, vcc, s14, v1
	v_addc_co_u32_e32 v2, vcc, v7, v2, vcc
	v_add_co_u32_e32 v1, vcc, v1, v3
	v_addc_co_u32_e32 v2, vcc, v2, v4, vcc
	s_mul_i32 s0, s9, 0xa80
	s_mul_hi_u32 s1, s8, 0xa80
	v_mov_b32_e32 v3, s7
	v_add_co_u32_e32 v31, vcc, s6, v70
	s_add_i32 s1, s1, s0
	s_mul_i32 s0, s8, 0xa80
	v_addc_co_u32_e32 v69, vcc, 0, v3, vcc
	s_lshl_b64 s[14:15], s[0:1], 2
	v_mov_b32_e32 v6, s15
	v_add_co_u32_e32 v3, vcc, s14, v1
	v_addc_co_u32_e32 v4, vcc, v2, v6, vcc
	global_load_dword v14, v[1:2], off
	global_load_dword v15, v[3:4], off
	s_movk_i32 s0, 0x2000
	v_add_co_u32_e32 v1, vcc, s0, v31
	v_addc_co_u32_e32 v2, vcc, 0, v69, vcc
	global_load_dword v90, v[1:2], off offset:2560
	v_add_co_u32_e32 v3, vcc, s14, v3
	v_addc_co_u32_e32 v4, vcc, v4, v6, vcc
	s_movk_i32 s0, 0x5000
	v_add_co_u32_e32 v1, vcc, s0, v31
	global_load_dword v16, v[3:4], off
	v_addc_co_u32_e32 v2, vcc, 0, v69, vcc
	global_load_dword v89, v[1:2], off offset:1024
	v_add_co_u32_e32 v7, vcc, s14, v3
	v_addc_co_u32_e32 v8, vcc, v4, v6, vcc
	global_load_dword v9, v[7:8], off
	s_movk_i32 s0, 0x7000
	v_add_co_u32_e32 v3, vcc, s0, v31
	s_mul_hi_u32 s1, s8, 0xffffe280
	v_addc_co_u32_e32 v4, vcc, 0, v69, vcc
	s_mul_i32 s0, s9, 0xffffe280
	s_sub_i32 s1, s1, s8
	global_load_dword v88, v[3:4], off offset:3584
	s_add_i32 s1, s1, s0
	s_mul_i32 s0, s8, 0xffffe280
	s_lshl_b64 s[16:17], s[0:1], 2
	v_mov_b32_e32 v5, s17
	v_add_co_u32_e32 v7, vcc, s16, v7
	v_addc_co_u32_e32 v8, vcc, v8, v5, vcc
	global_load_dword v17, v[7:8], off
	global_load_dword v87, v70, s[6:7] offset:2048
	v_add_co_u32_e32 v7, vcc, s14, v7
	v_addc_co_u32_e32 v8, vcc, v8, v6, vcc
	s_movk_i32 s0, 0x3000
	v_add_co_u32_e32 v10, vcc, s0, v31
	global_load_dword v18, v[7:8], off
	v_addc_co_u32_e32 v11, vcc, 0, v69, vcc
	global_load_dword v85, v[10:11], off offset:512
	v_add_co_u32_e32 v12, vcc, s14, v7
	v_addc_co_u32_e32 v13, vcc, v8, v6, vcc
	global_load_dword v19, v[12:13], off
	global_load_dword v83, v[1:2], off offset:3072
	s_load_dwordx2 s[12:13], s[4:5], 0x38
	s_load_dwordx4 s[8:11], s[2:3], 0x0
	global_load_dword v82, v[10:11], off offset:2560
	s_mov_b32 s0, 0x8000
	global_load_dword v32, v[3:4], off offset:1024
	s_waitcnt vmcnt(14)
	v_lshrrev_b32_e32 v7, 16, v14
	v_mul_f16_sdwa v8, v91, v7 dst_sel:DWORD dst_unused:UNUSED_PAD src0_sel:WORD_1 src1_sel:DWORD
	v_fma_f16 v8, v91, v14, v8
	v_mul_f16_sdwa v14, v91, v14 dst_sel:DWORD dst_unused:UNUSED_PAD src0_sel:WORD_1 src1_sel:DWORD
	v_fma_f16 v7, v91, v7, -v14
	v_pack_b32_f16 v14, v8, v7
	s_waitcnt vmcnt(13)
	v_lshrrev_b32_e32 v7, 16, v15
	s_waitcnt vmcnt(12)
	v_mul_f16_sdwa v8, v90, v7 dst_sel:DWORD dst_unused:UNUSED_PAD src0_sel:WORD_1 src1_sel:DWORD
	v_fma_f16 v8, v90, v15, v8
	v_mul_f16_sdwa v15, v90, v15 dst_sel:DWORD dst_unused:UNUSED_PAD src0_sel:WORD_1 src1_sel:DWORD
	v_fma_f16 v7, v90, v7, -v15
	v_pack_b32_f16 v7, v8, v7
	s_waitcnt vmcnt(11)
	v_lshrrev_b32_e32 v8, 16, v16
	s_waitcnt vmcnt(10)
	;; [unrolled: 8-line block ×4, first 2 shown]
	v_mul_f16_sdwa v16, v87, v9 dst_sel:DWORD dst_unused:UNUSED_PAD src0_sel:WORD_1 src1_sel:DWORD
	v_fma_f16 v16, v87, v17, v16
	v_mul_f16_sdwa v17, v87, v17 dst_sel:DWORD dst_unused:UNUSED_PAD src0_sel:WORD_1 src1_sel:DWORD
	v_fma_f16 v9, v87, v9, -v17
	v_pack_b32_f16 v9, v16, v9
	ds_write2st64_b32 v70, v14, v9 offset1:8
	s_waitcnt vmcnt(5)
	v_lshrrev_b32_e32 v9, 16, v18
	s_waitcnt vmcnt(4)
	v_mul_f16_sdwa v10, v85, v9 dst_sel:DWORD dst_unused:UNUSED_PAD src0_sel:WORD_1 src1_sel:DWORD
	v_mul_f16_sdwa v11, v85, v18 dst_sel:DWORD dst_unused:UNUSED_PAD src0_sel:WORD_1 src1_sel:DWORD
	v_fma_f16 v10, v85, v18, v10
	v_fma_f16 v9, v85, v9, -v11
	s_waitcnt vmcnt(3)
	v_lshrrev_b32_e32 v17, 16, v19
	v_pack_b32_f16 v16, v10, v9
	s_waitcnt vmcnt(2)
	v_mul_f16_sdwa v9, v83, v17 dst_sel:DWORD dst_unused:UNUSED_PAD src0_sel:WORD_1 src1_sel:DWORD
	v_fma_f16 v18, v83, v19, v9
	v_add_co_u32_e32 v9, vcc, s14, v12
	v_addc_co_u32_e32 v10, vcc, v13, v6, vcc
	v_add_co_u32_e32 v11, vcc, s0, v31
	global_load_dword v20, v[9:10], off
	v_addc_co_u32_e32 v12, vcc, 0, v69, vcc
	global_load_dword v86, v[11:12], off offset:1536
	v_add_co_u32_e32 v9, vcc, s16, v9
	v_addc_co_u32_e32 v10, vcc, v10, v5, vcc
	global_load_dword v23, v[9:10], off
	v_lshlrev_b32_e32 v13, 2, v21
	global_load_dword v84, v13, s[6:7]
	v_add_co_u32_e32 v9, vcc, s14, v9
	v_addc_co_u32_e32 v10, vcc, v10, v6, vcc
	global_load_dword v24, v[9:10], off
	v_add_co_u32_e32 v9, vcc, s14, v9
	v_addc_co_u32_e32 v10, vcc, v10, v6, vcc
	s_movk_i32 s0, 0x6000
	v_add_co_u32_e32 v13, vcc, s0, v31
	global_load_dword v25, v[9:10], off
	v_addc_co_u32_e32 v14, vcc, 0, v69, vcc
	global_load_dword v39, v[13:14], off offset:1024
	v_add_co_u32_e32 v9, vcc, s14, v9
	v_addc_co_u32_e32 v10, vcc, v10, v6, vcc
	global_load_dword v26, v[9:10], off
	global_load_dword v38, v[11:12], off offset:3584
	v_add_co_u32_e32 v9, vcc, s16, v9
	v_addc_co_u32_e32 v10, vcc, v10, v5, vcc
	global_load_dword v27, v[9:10], off
	v_lshlrev_b32_e32 v11, 2, v65
	global_load_dword v37, v11, s[6:7]
	v_add_co_u32_e32 v9, vcc, s14, v9
	v_addc_co_u32_e32 v10, vcc, v10, v6, vcc
	s_movk_i32 s0, 0x4000
	buffer_store_dword v11, off, s[28:31], 0 offset:80 ; 4-byte Folded Spill
	v_add_co_u32_e32 v11, vcc, s0, v31
	global_load_dword v28, v[9:10], off
	v_addc_co_u32_e32 v12, vcc, 0, v69, vcc
	global_load_dword v36, v[11:12], off offset:512
	v_add_co_u32_e32 v9, vcc, s14, v9
	v_addc_co_u32_e32 v10, vcc, v10, v6, vcc
	global_load_dword v29, v[9:10], off
	global_load_dword v35, v[13:14], off offset:3072
	v_add_co_u32_e32 v9, vcc, s14, v9
	v_addc_co_u32_e32 v10, vcc, v10, v6, vcc
	s_mov_b32 s0, 0x9000
	v_add_co_u32_e32 v13, vcc, s0, v31
	global_load_dword v30, v[9:10], off
	v_addc_co_u32_e32 v14, vcc, 0, v69, vcc
	global_load_dword v34, v[13:14], off offset:1536
	v_add_co_u32_e32 v9, vcc, s16, v9
	v_addc_co_u32_e32 v10, vcc, v10, v5, vcc
	buffer_store_dword v31, off, s[28:31], 0 offset:4 ; 4-byte Folded Spill
	global_load_dword v31, v[9:10], off
	v_lshlrev_b32_e32 v5, 2, v80
	global_load_dword v33, v5, s[6:7]
	v_add_co_u32_e32 v9, vcc, s14, v9
	v_mul_f16_sdwa v19, v83, v19 dst_sel:DWORD dst_unused:UNUSED_PAD src0_sel:WORD_1 src1_sel:DWORD
	buffer_store_dword v5, off, s[28:31], 0 offset:76 ; 4-byte Folded Spill
	v_addc_co_u32_e32 v10, vcc, v10, v6, vcc
	v_fma_f16 v5, v83, v17, -v19
	global_load_dword v17, v[9:10], off
	global_load_dword v19, v[11:12], off offset:2560
	v_add_co_u32_e32 v9, vcc, s14, v9
	v_addc_co_u32_e32 v10, vcc, v10, v6, vcc
	global_load_dword v11, v[9:10], off
	v_pack_b32_f16 v5, v18, v5
	ds_write2st64_b32 v70, v8, v5 offset0:84 offset1:92
	v_add_co_u32_e32 v5, vcc, s14, v9
	v_addc_co_u32_e32 v6, vcc, v10, v6, vcc
	global_load_dword v9, v[5:6], off
	global_load_dword v18, v[13:14], off offset:3584
	s_waitcnt vmcnt(26)
	v_lshrrev_b32_e32 v8, 16, v20
	s_waitcnt vmcnt(25)
	v_mul_f16_sdwa v10, v86, v8 dst_sel:DWORD dst_unused:UNUSED_PAD src0_sel:WORD_1 src1_sel:DWORD
	v_mul_f16_sdwa v12, v86, v20 dst_sel:DWORD dst_unused:UNUSED_PAD src0_sel:WORD_1 src1_sel:DWORD
	v_fma_f16 v10, v86, v20, v10
	v_fma_f16 v8, v86, v8, -v12
	v_pack_b32_f16 v8, v10, v8
	s_waitcnt vmcnt(24)
	v_lshrrev_b32_e32 v10, 16, v23
	s_waitcnt vmcnt(23)
	v_mul_f16_sdwa v12, v84, v10 dst_sel:DWORD dst_unused:UNUSED_PAD src0_sel:WORD_1 src1_sel:DWORD
	v_mul_f16_sdwa v13, v84, v23 dst_sel:DWORD dst_unused:UNUSED_PAD src0_sel:WORD_1 src1_sel:DWORD
	v_fma_f16 v12, v84, v23, v12
	v_fma_f16 v10, v84, v10, -v13
	v_pack_b32_f16 v10, v12, v10
	s_waitcnt vmcnt(22)
	v_lshrrev_b32_e32 v12, 16, v24
	v_mul_f16_sdwa v13, v82, v12 dst_sel:DWORD dst_unused:UNUSED_PAD src0_sel:WORD_1 src1_sel:DWORD
	v_mul_f16_sdwa v14, v82, v24 dst_sel:DWORD dst_unused:UNUSED_PAD src0_sel:WORD_1 src1_sel:DWORD
	v_fma_f16 v13, v82, v24, v13
	v_fma_f16 v12, v82, v12, -v14
	v_pack_b32_f16 v12, v13, v12
	ds_write2st64_b32 v70, v16, v12 offset0:50 offset1:58
	s_waitcnt vmcnt(21)
	v_lshrrev_b32_e32 v12, 16, v25
	s_waitcnt vmcnt(20)
	v_mul_f16_sdwa v13, v39, v12 dst_sel:DWORD dst_unused:UNUSED_PAD src0_sel:WORD_1 src1_sel:DWORD
	v_mul_f16_sdwa v14, v39, v25 dst_sel:DWORD dst_unused:UNUSED_PAD src0_sel:WORD_1 src1_sel:DWORD
	v_fma_f16 v13, v39, v25, v13
	v_fma_f16 v12, v39, v12, -v14
	v_pack_b32_f16 v12, v13, v12
	s_waitcnt vmcnt(19)
	v_lshrrev_b32_e32 v13, 16, v26
	s_waitcnt vmcnt(18)
	v_mul_f16_sdwa v14, v38, v13 dst_sel:DWORD dst_unused:UNUSED_PAD src0_sel:WORD_1 src1_sel:DWORD
	v_mul_f16_sdwa v16, v38, v26 dst_sel:DWORD dst_unused:UNUSED_PAD src0_sel:WORD_1 src1_sel:DWORD
	v_fma_f16 v14, v38, v26, v14
	v_fma_f16 v13, v38, v13, -v16
	v_pack_b32_f16 v13, v14, v13
	ds_write2st64_b32 v70, v8, v13 offset0:134 offset1:142
	s_waitcnt vmcnt(17)
	v_lshrrev_b32_e32 v8, 16, v27
	s_waitcnt vmcnt(16)
	v_mul_f16_sdwa v13, v37, v8 dst_sel:DWORD dst_unused:UNUSED_PAD src0_sel:WORD_1 src1_sel:DWORD
	v_mul_f16_sdwa v14, v37, v27 dst_sel:DWORD dst_unused:UNUSED_PAD src0_sel:WORD_1 src1_sel:DWORD
	v_fma_f16 v13, v37, v27, v13
	v_fma_f16 v8, v37, v8, -v14
	v_pack_b32_f16 v8, v13, v8
	ds_write2st64_b32 v70, v10, v8 offset0:16 offset1:24
	s_waitcnt vmcnt(14)
	v_lshrrev_b32_e32 v8, 16, v28
	s_waitcnt vmcnt(13)
	v_mul_f16_sdwa v10, v36, v8 dst_sel:DWORD dst_unused:UNUSED_PAD src0_sel:WORD_1 src1_sel:DWORD
	v_mul_f16_sdwa v13, v36, v28 dst_sel:DWORD dst_unused:UNUSED_PAD src0_sel:WORD_1 src1_sel:DWORD
	v_fma_f16 v10, v36, v28, v10
	v_fma_f16 v8, v36, v8, -v13
	v_pack_b32_f16 v8, v10, v8
	s_waitcnt vmcnt(12)
	v_lshrrev_b32_e32 v10, 16, v29
	s_waitcnt vmcnt(11)
	v_mul_f16_sdwa v13, v35, v10 dst_sel:DWORD dst_unused:UNUSED_PAD src0_sel:WORD_1 src1_sel:DWORD
	v_mul_f16_sdwa v14, v35, v29 dst_sel:DWORD dst_unused:UNUSED_PAD src0_sel:WORD_1 src1_sel:DWORD
	v_fma_f16 v13, v35, v29, v13
	v_fma_f16 v10, v35, v10, -v14
	v_pack_b32_f16 v10, v13, v10
	ds_write2st64_b32 v70, v12, v10 offset0:100 offset1:108
	s_waitcnt vmcnt(10)
	v_lshrrev_b32_e32 v10, 16, v30
	s_waitcnt vmcnt(9)
	v_mul_f16_sdwa v12, v34, v10 dst_sel:DWORD dst_unused:UNUSED_PAD src0_sel:WORD_1 src1_sel:DWORD
	v_mul_f16_sdwa v13, v34, v30 dst_sel:DWORD dst_unused:UNUSED_PAD src0_sel:WORD_1 src1_sel:DWORD
	v_fma_f16 v12, v34, v30, v12
	v_fma_f16 v10, v34, v10, -v13
	v_pack_b32_f16 v10, v12, v10
	s_waitcnt vmcnt(7)
	v_lshrrev_b32_e32 v12, 16, v31
	s_waitcnt vmcnt(6)
	v_mul_f16_sdwa v13, v33, v12 dst_sel:DWORD dst_unused:UNUSED_PAD src0_sel:WORD_1 src1_sel:DWORD
	v_mul_f16_sdwa v14, v33, v31 dst_sel:DWORD dst_unused:UNUSED_PAD src0_sel:WORD_1 src1_sel:DWORD
	v_fma_f16 v13, v33, v31, v13
	v_fma_f16 v12, v33, v12, -v14
	v_pack_b32_f16 v12, v13, v12
	ds_write2st64_b32 v70, v12, v7 offset0:32 offset1:42
	v_or_b32_e32 v23, 0xa00, v0
	s_waitcnt vmcnt(4)
	v_lshrrev_b32_e32 v7, 16, v17
	s_waitcnt vmcnt(3)
	v_mul_f16_sdwa v12, v19, v7 dst_sel:DWORD dst_unused:UNUSED_PAD src0_sel:WORD_1 src1_sel:DWORD
	v_mul_f16_sdwa v13, v19, v17 dst_sel:DWORD dst_unused:UNUSED_PAD src0_sel:WORD_1 src1_sel:DWORD
	v_fma_f16 v12, v19, v17, v12
	v_fma_f16 v7, v19, v7, -v13
	v_pack_b32_f16 v7, v12, v7
	ds_write2st64_b32 v70, v8, v7 offset0:66 offset1:74
	s_waitcnt vmcnt(2)
	v_lshrrev_b32_e32 v7, 16, v11
	v_mul_f16_sdwa v8, v32, v7 dst_sel:DWORD dst_unused:UNUSED_PAD src0_sel:WORD_1 src1_sel:DWORD
	v_fma_f16 v8, v32, v11, v8
	v_mul_f16_sdwa v11, v32, v11 dst_sel:DWORD dst_unused:UNUSED_PAD src0_sel:WORD_1 src1_sel:DWORD
	v_fma_f16 v7, v32, v7, -v11
	v_pack_b32_f16 v7, v8, v7
	ds_write2st64_b32 v70, v7, v15 offset0:116 offset1:126
	s_waitcnt vmcnt(1)
	v_lshrrev_b32_e32 v7, 16, v9
	s_waitcnt vmcnt(0)
	v_mul_f16_sdwa v8, v18, v7 dst_sel:DWORD dst_unused:UNUSED_PAD src0_sel:WORD_1 src1_sel:DWORD
	v_fma_f16 v8, v18, v9, v8
	v_mul_f16_sdwa v9, v18, v9 dst_sel:DWORD dst_unused:UNUSED_PAD src0_sel:WORD_1 src1_sel:DWORD
	v_fma_f16 v7, v18, v7, -v9
	v_mov_b32_e32 v24, v22
	s_mov_b64 s[0:1], 0xa80
	v_pack_b32_f16 v7, v8, v7
	v_cmp_gt_u64_e64 s[0:1], s[0:1], v[23:24]
	ds_write2st64_b32 v70, v10, v7 offset0:150 offset1:158
	v_lshlrev_b32_e32 v7, 2, v23
	buffer_store_dword v39, off, s[28:31], 0 offset:48 ; 4-byte Folded Spill
	buffer_store_dword v38, off, s[28:31], 0 offset:44 ; 4-byte Folded Spill
	;; [unrolled: 1-line block ×11, first 2 shown]
	s_and_saveexec_b64 s[2:3], s[0:1]
	s_cbranch_execz .LBB0_3
; %bb.2:
	v_mov_b32_e32 v7, s17
	v_add_co_u32_e32 v5, vcc, s16, v5
	v_addc_co_u32_e32 v6, vcc, v6, v7, vcc
	global_load_dword v7, v[5:6], off
	v_mov_b32_e32 v9, s15
	v_add_co_u32_e32 v5, vcc, s14, v5
	v_addc_co_u32_e32 v6, vcc, v6, v9, vcc
	global_load_dword v10, v[5:6], off
	v_add_co_u32_e32 v5, vcc, s14, v5
	v_lshlrev_b32_e32 v8, 2, v23
	v_addc_co_u32_e32 v6, vcc, v6, v9, vcc
	global_load_dword v8, v8, s[6:7]
	s_nop 0
	global_load_dword v11, v[5:6], off
	global_load_dword v12, v[1:2], off offset:512
	global_load_dword v13, v[3:4], off offset:3072
	v_add_co_u32_e32 v1, vcc, s14, v5
	v_addc_co_u32_e32 v2, vcc, v6, v9, vcc
	global_load_dword v3, v[1:2], off
	s_waitcnt vmcnt(4)
	v_mul_f16_sdwa v4, v8, v7 dst_sel:DWORD dst_unused:UNUSED_PAD src0_sel:WORD_1 src1_sel:DWORD
	buffer_load_dword v1, off, s[28:31], 0 offset:4 ; 4-byte Folded Reload
	s_waitcnt vmcnt(3)
	v_mul_f16_sdwa v6, v12, v10 dst_sel:DWORD dst_unused:UNUSED_PAD src0_sel:WORD_1 src1_sel:DWORD
	s_waitcnt vmcnt(0)
	v_add_co_u32_e32 v1, vcc, 0xa000, v1
	v_addc_co_u32_e32 v2, vcc, 0, v69, vcc
	global_load_dword v1, v[1:2], off offset:1536
	v_lshrrev_b32_e32 v2, 16, v7
	v_mul_f16_sdwa v5, v8, v2 dst_sel:DWORD dst_unused:UNUSED_PAD src0_sel:WORD_1 src1_sel:DWORD
	v_fma_f16 v2, v8, v2, -v4
	v_lshrrev_b32_e32 v4, 16, v10
	v_fma_f16 v5, v8, v7, v5
	v_mul_f16_sdwa v7, v12, v4 dst_sel:DWORD dst_unused:UNUSED_PAD src0_sel:WORD_1 src1_sel:DWORD
	v_fma_f16 v4, v12, v4, -v6
	v_lshrrev_b32_e32 v6, 16, v11
	v_mul_f16_sdwa v8, v13, v11 dst_sel:DWORD dst_unused:UNUSED_PAD src0_sel:WORD_1 src1_sel:DWORD
	v_pack_b32_f16 v2, v5, v2
	v_fma_f16 v5, v12, v10, v7
	v_mul_f16_sdwa v7, v13, v6 dst_sel:DWORD dst_unused:UNUSED_PAD src0_sel:WORD_1 src1_sel:DWORD
	v_fma_f16 v6, v13, v6, -v8
	v_lshrrev_b32_e32 v8, 16, v3
	v_pack_b32_f16 v4, v5, v4
	v_fma_f16 v5, v13, v11, v7
	ds_write2st64_b32 v70, v2, v4 offset0:40 offset1:82
	v_pack_b32_f16 v2, v5, v6
	s_waitcnt vmcnt(0)
	v_mul_f16_sdwa v9, v1, v3 dst_sel:DWORD dst_unused:UNUSED_PAD src0_sel:WORD_1 src1_sel:DWORD
	v_mul_f16_sdwa v7, v1, v8 dst_sel:DWORD dst_unused:UNUSED_PAD src0_sel:WORD_1 src1_sel:DWORD
	v_fma_f16 v3, v1, v3, v7
	v_fma_f16 v1, v1, v8, -v9
	v_pack_b32_f16 v1, v3, v1
	ds_write2st64_b32 v70, v2, v1 offset0:124 offset1:166
.LBB0_3:
	s_or_b64 exec, exec, s[2:3]
	s_waitcnt vmcnt(0) lgkmcnt(0)
	s_barrier
	ds_read2st64_b32 v[7:8], v70 offset1:8
	ds_read2st64_b32 v[9:10], v70 offset0:32 offset1:42
	ds_read2st64_b32 v[32:33], v70 offset0:84 offset1:92
	;; [unrolled: 1-line block ×9, first 2 shown]
                                        ; implicit-def: $vgpr11
                                        ; implicit-def: $vgpr16
	s_and_saveexec_b64 s[2:3], s[0:1]
	s_cbranch_execz .LBB0_5
; %bb.4:
	ds_read2st64_b32 v[11:12], v70 offset0:40 offset1:82
	ds_read2st64_b32 v[16:17], v70 offset0:124 offset1:166
.LBB0_5:
	s_or_b64 exec, exec, s[2:3]
	s_waitcnt lgkmcnt(7)
	v_pk_add_f16 v20, v7, v32 neg_lo:[0,1] neg_hi:[0,1]
	s_waitcnt lgkmcnt(6)
	v_pk_add_f16 v14, v10, v14 neg_lo:[0,1] neg_hi:[0,1]
	v_lshrrev_b32_e32 v15, 16, v20
	v_add_f16_e32 v37, v15, v14
	v_pk_add_f16 v40, v8, v33 neg_lo:[0,1] neg_hi:[0,1]
	v_fma_f16 v39, v15, 2.0, -v37
	s_waitcnt lgkmcnt(4)
	v_pk_add_f16 v41, v5, v28 neg_lo:[0,1] neg_hi:[0,1]
	v_lshrrev_b32_e32 v15, 16, v40
	v_add_f16_e32 v43, v15, v41
	s_waitcnt lgkmcnt(2)
	v_pk_add_f16 v26, v1, v26 neg_lo:[0,1] neg_hi:[0,1]
	v_fma_f16 v45, v15, 2.0, -v43
	v_pk_add_f16 v46, v6, v29 neg_lo:[0,1] neg_hi:[0,1]
	v_lshrrev_b32_e32 v15, 16, v26
	v_add_f16_e32 v48, v15, v46
	v_pk_add_f16 v27, v2, v27 neg_lo:[0,1] neg_hi:[0,1]
	v_fma_f16 v50, v15, 2.0, -v48
	s_waitcnt lgkmcnt(0)
	v_pk_add_f16 v18, v3, v18 neg_lo:[0,1] neg_hi:[0,1]
	v_lshrrev_b32_e32 v15, 16, v27
	v_pk_add_f16 v13, v9, v13 neg_lo:[0,1] neg_hi:[0,1]
	v_pk_add_f16 v19, v4, v19 neg_lo:[0,1] neg_hi:[0,1]
	v_add_f16_e32 v52, v15, v18
	v_pk_fma_f16 v55, v9, 2.0, v13 op_sel_hi:[1,0,1] neg_lo:[0,0,1] neg_hi:[0,0,1]
	v_pk_fma_f16 v4, v4, 2.0, v19 op_sel_hi:[1,0,1] neg_lo:[0,0,1] neg_hi:[0,0,1]
	v_fma_f16 v54, v15, 2.0, -v52
	v_pk_add_f16 v15, v55, v4 neg_lo:[0,1] neg_hi:[0,1]
	v_lshrrev_b32_e32 v4, 16, v13
	v_add_f16_e32 v30, v4, v19
	v_fma_f16 v34, v4, 2.0, -v30
	v_pk_add_f16 v4, v11, v16 neg_lo:[0,1] neg_hi:[0,1]
	v_pk_add_f16 v9, v12, v17 neg_lo:[0,1] neg_hi:[0,1]
	v_pk_fma_f16 v11, v11, 2.0, v4 op_sel_hi:[1,0,1] neg_lo:[0,0,1] neg_hi:[0,0,1]
	v_pk_fma_f16 v12, v12, 2.0, v9 op_sel_hi:[1,0,1] neg_lo:[0,0,1] neg_hi:[0,0,1]
	v_sub_f16_sdwa v28, v13, v19 dst_sel:DWORD dst_unused:UNUSED_PAD src0_sel:DWORD src1_sel:WORD_1
	v_pk_add_f16 v19, v11, v12 neg_lo:[0,1] neg_hi:[0,1]
	v_pk_fma_f16 v17, v11, 2.0, v19 op_sel_hi:[1,0,1] neg_lo:[0,0,1] neg_hi:[0,0,1]
	v_sub_f16_sdwa v29, v4, v9 dst_sel:DWORD dst_unused:UNUSED_PAD src0_sel:DWORD src1_sel:WORD_1
	v_lshrrev_b32_e32 v11, 16, v4
	v_sub_f16_sdwa v31, v20, v14 dst_sel:DWORD dst_unused:UNUSED_PAD src0_sel:DWORD src1_sel:WORD_1
	v_add_f16_e32 v32, v9, v11
	v_fma_f16 v33, v4, 2.0, -v29
	v_pk_fma_f16 v4, v7, 2.0, v20 op_sel_hi:[1,0,1] neg_lo:[0,0,1] neg_hi:[0,0,1]
	v_pk_fma_f16 v7, v10, 2.0, v14 op_sel_hi:[1,0,1] neg_lo:[0,0,1] neg_hi:[0,0,1]
	v_fma_f16 v38, v20, 2.0, -v31
	v_fma_f16 v35, v11, 2.0, -v32
	v_pk_add_f16 v11, v4, v7 neg_lo:[0,1] neg_hi:[0,1]
	v_lshlrev_b32_e32 v79, 4, v0
	v_pk_fma_f16 v9, v4, 2.0, v11 op_sel_hi:[1,0,1] neg_lo:[0,0,1] neg_hi:[0,0,1]
	v_pack_b32_f16 v12, v31, v37
	v_pack_b32_f16 v10, v38, v39
	v_pk_fma_f16 v4, v8, 2.0, v40 op_sel_hi:[1,0,1] neg_lo:[0,0,1] neg_hi:[0,0,1]
	v_pk_fma_f16 v5, v5, 2.0, v41 op_sel_hi:[1,0,1] neg_lo:[0,0,1] neg_hi:[0,0,1]
	s_barrier
	ds_write_b128 v79, v[9:12]
	v_pk_add_f16 v9, v4, v5 neg_lo:[0,1] neg_hi:[0,1]
	v_sub_f16_sdwa v42, v40, v41 dst_sel:DWORD dst_unused:UNUSED_PAD src0_sel:DWORD src1_sel:WORD_1
	v_pk_fma_f16 v7, v4, 2.0, v9 op_sel_hi:[1,0,1] neg_lo:[0,0,1] neg_hi:[0,0,1]
	v_pk_fma_f16 v1, v1, 2.0, v26 op_sel_hi:[1,0,1] neg_lo:[0,0,1] neg_hi:[0,0,1]
	;; [unrolled: 1-line block ×3, first 2 shown]
	v_or_b32_e32 v24, 0x200, v0
	v_fma_f16 v44, v40, 2.0, -v42
	v_sub_f16_sdwa v47, v26, v46 dst_sel:DWORD dst_unused:UNUSED_PAD src0_sel:DWORD src1_sel:WORD_1
	v_pk_add_f16 v6, v1, v4 neg_lo:[0,1] neg_hi:[0,1]
	s_load_dwordx2 s[14:15], s[4:5], 0x8
	v_fma_f16 v49, v26, 2.0, -v47
	v_sub_f16_sdwa v51, v27, v18 dst_sel:DWORD dst_unused:UNUSED_PAD src0_sel:DWORD src1_sel:WORD_1
	v_lshlrev_b32_e32 v11, 4, v24
	v_pack_b32_f16 v10, v42, v43
	v_pack_b32_f16 v8, v44, v45
	v_pk_fma_f16 v4, v1, 2.0, v6 op_sel_hi:[1,0,1] neg_lo:[0,0,1] neg_hi:[0,0,1]
	v_pk_fma_f16 v1, v2, 2.0, v27 op_sel_hi:[1,0,1] neg_lo:[0,0,1] neg_hi:[0,0,1]
	;; [unrolled: 1-line block ×3, first 2 shown]
	v_fma_f16 v53, v27, 2.0, -v51
	ds_write_b128 v11, v[7:10]
	v_lshlrev_b32_e32 v8, 4, v21
	v_pack_b32_f16 v7, v47, v48
	v_pack_b32_f16 v5, v49, v50
	v_pk_add_f16 v3, v1, v2 neg_lo:[0,1] neg_hi:[0,1]
	v_fma_f16 v36, v13, 2.0, -v28
	ds_write_b128 v8, v[4:7]
	v_lshlrev_b32_e32 v5, 4, v65
	v_pk_fma_f16 v1, v1, 2.0, v3 op_sel_hi:[1,0,1] neg_lo:[0,0,1] neg_hi:[0,0,1]
	v_pack_b32_f16 v4, v51, v52
	v_pack_b32_f16 v2, v53, v54
	ds_write_b128 v5, v[1:4]
	v_lshlrev_b32_e32 v1, 4, v80
	v_pk_fma_f16 v13, v55, 2.0, v15 op_sel_hi:[1,0,1] neg_lo:[0,0,1] neg_hi:[0,0,1]
	v_pack_b32_f16 v16, v28, v30
	v_pack_b32_f16 v14, v36, v34
	v_mov_b32_e32 v25, 0
	buffer_store_dword v1, off, s[28:31], 0 offset:72 ; 4-byte Folded Spill
	ds_write_b128 v1, v[13:16]
	v_lshlrev_b32_e32 v1, 4, v23
	buffer_store_dword v11, off, s[28:31], 0 offset:60 ; 4-byte Folded Spill
	buffer_store_dword v8, off, s[28:31], 0 offset:64 ; 4-byte Folded Spill
	;; [unrolled: 1-line block ×4, first 2 shown]
	s_and_saveexec_b64 s[2:3], s[0:1]
	s_cbranch_execz .LBB0_7
; %bb.6:
	s_mov_b32 s4, 0x5040100
	v_perm_b32 v20, v32, v29, s4
	v_perm_b32 v18, v35, v33, s4
	v_lshlrev_b32_e32 v1, 4, v23
	ds_write_b128 v1, v[17:20]
.LBB0_7:
	s_or_b64 exec, exec, s[2:3]
	s_waitcnt vmcnt(0) lgkmcnt(0)
	s_barrier
	ds_read_b32 v8, v70 offset:2688
	ds_read_b32 v7, v70 offset:5376
	;; [unrolled: 1-line block ×14, first 2 shown]
	ds_read_b32 v16, v70
	ds_read_b32 v52, v70 offset:40320
	s_mov_b64 s[2:3], 0x2a0
	v_cmp_gt_u64_e64 s[2:3], s[2:3], v[24:25]
	v_lshrrev_b32_e32 v14, 16, v13
                                        ; implicit-def: $vgpr18
                                        ; implicit-def: $vgpr39
                                        ; implicit-def: $vgpr20
                                        ; implicit-def: $vgpr40
                                        ; implicit-def: $vgpr37
                                        ; implicit-def: $vgpr41
                                        ; implicit-def: $vgpr38
                                        ; implicit-def: $vgpr43
                                        ; implicit-def: $vgpr42
                                        ; implicit-def: $vgpr45
                                        ; implicit-def: $vgpr44
                                        ; implicit-def: $vgpr47
                                        ; implicit-def: $vgpr46
                                        ; implicit-def: $vgpr49
                                        ; implicit-def: $vgpr48
                                        ; implicit-def: $vgpr50
	s_and_saveexec_b64 s[4:5], s[2:3]
	s_cbranch_execz .LBB0_9
; %bb.8:
	ds_read_b32 v13, v70 offset:2048
	ds_read_b32 v36, v70 offset:4736
	;; [unrolled: 1-line block ×16, first 2 shown]
	s_waitcnt lgkmcnt(14)
	v_lshrrev_b32_e32 v14, 16, v13
	v_lshrrev_b32_e32 v34, 16, v36
	s_waitcnt lgkmcnt(12)
	v_lshrrev_b32_e32 v30, 16, v28
	s_waitcnt lgkmcnt(6)
	;; [unrolled: 2-line block ×7, first 2 shown]
	v_lshrrev_b32_e32 v45, 16, v42
	v_lshrrev_b32_e32 v43, 16, v38
	;; [unrolled: 1-line block ×5, first 2 shown]
.LBB0_9:
	s_or_b64 exec, exec, s[4:5]
	v_and_b32_e32 v68, 3, v0
	v_mad_u64_u32 v[77:78], s[4:5], v68, 60, s[14:15]
	s_waitcnt lgkmcnt(14)
	v_lshrrev_b32_e32 v25, 16, v8
	v_lshrrev_b32_e32 v56, 16, v7
	global_load_dwordx4 v[1:4], v[77:78], off
	s_waitcnt lgkmcnt(13)
	v_lshrrev_b32_e32 v58, 16, v6
	s_waitcnt lgkmcnt(12)
	v_lshrrev_b32_e32 v62, 16, v5
	;; [unrolled: 2-line block ×13, first 2 shown]
	v_lshrrev_b32_e32 v51, 16, v16
	s_mov_b32 s4, 0xb9a8
	s_movk_i32 s5, 0x39a8
	s_mov_b32 s16, 0xbb64
	s_mov_b32 s17, 0xb61f
	s_movk_i32 s18, 0x361f
	s_movk_i32 s19, 0x3b64
	s_waitcnt vmcnt(0)
	v_mul_f16_sdwa v55, v25, v1 dst_sel:DWORD dst_unused:UNUSED_PAD src0_sel:DWORD src1_sel:WORD_1
	v_fma_f16 v55, v8, v1, -v55
	v_mul_f16_sdwa v8, v8, v1 dst_sel:DWORD dst_unused:UNUSED_PAD src0_sel:DWORD src1_sel:WORD_1
	v_fma_f16 v57, v25, v1, v8
	v_mul_f16_sdwa v8, v56, v2 dst_sel:DWORD dst_unused:UNUSED_PAD src0_sel:DWORD src1_sel:WORD_1
	v_fma_f16 v59, v7, v2, -v8
	v_mul_f16_sdwa v7, v7, v2 dst_sel:DWORD dst_unused:UNUSED_PAD src0_sel:DWORD src1_sel:WORD_1
	v_fma_f16 v60, v56, v2, v7
	;; [unrolled: 4-line block ×4, first 2 shown]
	global_load_dwordx4 v[5:8], v[77:78], off offset:16
	s_waitcnt vmcnt(0)
	v_mul_f16_sdwa v25, v63, v5 dst_sel:DWORD dst_unused:UNUSED_PAD src0_sel:DWORD src1_sel:WORD_1
	v_fma_f16 v62, v12, v5, -v25
	v_mul_f16_sdwa v12, v12, v5 dst_sel:DWORD dst_unused:UNUSED_PAD src0_sel:DWORD src1_sel:WORD_1
	v_fma_f16 v67, v63, v5, v12
	v_mul_f16_sdwa v12, v71, v6 dst_sel:DWORD dst_unused:UNUSED_PAD src0_sel:DWORD src1_sel:WORD_1
	v_fma_f16 v92, v11, v6, -v12
	v_mul_f16_sdwa v11, v11, v6 dst_sel:DWORD dst_unused:UNUSED_PAD src0_sel:DWORD src1_sel:WORD_1
	v_fma_f16 v93, v71, v6, v11
	;; [unrolled: 4-line block ×4, first 2 shown]
	global_load_dwordx4 v[9:12], v[77:78], off offset:32
	s_waitcnt vmcnt(0)
	v_mul_f16_sdwa v25, v76, v9 dst_sel:DWORD dst_unused:UNUSED_PAD src0_sel:DWORD src1_sel:WORD_1
	v_fma_f16 v71, v74, v9, -v25
	v_mul_f16_sdwa v25, v74, v9 dst_sel:DWORD dst_unused:UNUSED_PAD src0_sel:DWORD src1_sel:WORD_1
	v_fma_f16 v74, v76, v9, v25
	v_mul_f16_sdwa v25, v97, v10 dst_sel:DWORD dst_unused:UNUSED_PAD src0_sel:DWORD src1_sel:WORD_1
	v_fma_f16 v98, v72, v10, -v25
	v_mul_f16_sdwa v25, v72, v10 dst_sel:DWORD dst_unused:UNUSED_PAD src0_sel:DWORD src1_sel:WORD_1
	v_fma_f16 v99, v97, v10, v25
	v_mul_f16_sdwa v25, v100, v11 dst_sel:DWORD dst_unused:UNUSED_PAD src0_sel:DWORD src1_sel:WORD_1
	v_fma_f16 v72, v27, v11, -v25
	v_mul_f16_sdwa v25, v27, v11 dst_sel:DWORD dst_unused:UNUSED_PAD src0_sel:DWORD src1_sel:WORD_1
	v_fma_f16 v97, v100, v11, v25
	v_mul_f16_sdwa v25, v101, v12 dst_sel:DWORD dst_unused:UNUSED_PAD src0_sel:DWORD src1_sel:WORD_1
	v_fma_f16 v75, v26, v12, -v25
	v_mul_f16_sdwa v25, v26, v12 dst_sel:DWORD dst_unused:UNUSED_PAD src0_sel:DWORD src1_sel:WORD_1
	v_fma_f16 v76, v101, v12, v25
	global_load_dwordx3 v[25:27], v[77:78], off offset:48
	v_sub_f16_e32 v76, v66, v76
	v_sub_f16_e32 v75, v61, v75
	v_fma_f16 v66, v66, 2.0, -v76
	v_fma_f16 v61, v61, 2.0, -v75
	v_sub_f16_e32 v71, v55, v71
	v_sub_f16_e32 v72, v56, v72
	;; [unrolled: 1-line block ×3, first 2 shown]
	v_fma_f16 v55, v55, 2.0, -v71
	v_sub_f16_e32 v97, v58, v97
	v_fma_f16 v56, v56, 2.0, -v72
	v_fma_f16 v57, v57, 2.0, -v74
	;; [unrolled: 1-line block ×3, first 2 shown]
	s_waitcnt vmcnt(0)
	s_barrier
	v_mul_f16_sdwa v77, v64, v25 dst_sel:DWORD dst_unused:UNUSED_PAD src0_sel:DWORD src1_sel:WORD_1
	v_fma_f16 v77, v54, v25, -v77
	v_mul_f16_sdwa v54, v54, v25 dst_sel:DWORD dst_unused:UNUSED_PAD src0_sel:DWORD src1_sel:WORD_1
	v_fma_f16 v54, v64, v25, v54
	v_mul_f16_sdwa v64, v31, v26 dst_sel:DWORD dst_unused:UNUSED_PAD src0_sel:DWORD src1_sel:WORD_1
	v_fma_f16 v64, v53, v26, -v64
	v_mul_f16_sdwa v53, v53, v26 dst_sel:DWORD dst_unused:UNUSED_PAD src0_sel:DWORD src1_sel:WORD_1
	v_fma_f16 v53, v31, v26, v53
	;; [unrolled: 4-line block ×4, first 2 shown]
	v_lshrrev_b32_e32 v36, 16, v15
	v_mul_f16_sdwa v96, v36, v2 dst_sel:DWORD dst_unused:UNUSED_PAD src0_sel:DWORD src1_sel:WORD_1
	v_fma_f16 v96, v15, v2, -v96
	v_mul_f16_sdwa v15, v15, v2 dst_sel:DWORD dst_unused:UNUSED_PAD src0_sel:DWORD src1_sel:WORD_1
	v_fma_f16 v15, v36, v2, v15
	v_mul_f16_sdwa v36, v30, v3 dst_sel:DWORD dst_unused:UNUSED_PAD src0_sel:DWORD src1_sel:WORD_1
	v_fma_f16 v36, v28, v3, -v36
	v_mul_f16_sdwa v28, v28, v3 dst_sel:DWORD dst_unused:UNUSED_PAD src0_sel:DWORD src1_sel:WORD_1
	v_fma_f16 v28, v30, v3, v28
	v_lshrrev_b32_e32 v30, 16, v17
	v_mul_f16_sdwa v100, v30, v4 dst_sel:DWORD dst_unused:UNUSED_PAD src0_sel:DWORD src1_sel:WORD_1
	v_fma_f16 v100, v17, v4, -v100
	v_mul_f16_sdwa v17, v17, v4 dst_sel:DWORD dst_unused:UNUSED_PAD src0_sel:DWORD src1_sel:WORD_1
	v_fma_f16 v17, v30, v4, v17
	v_mul_f16_sdwa v30, v35, v5 dst_sel:DWORD dst_unused:UNUSED_PAD src0_sel:DWORD src1_sel:WORD_1
	v_fma_f16 v30, v33, v5, -v30
	v_mul_f16_sdwa v33, v33, v5 dst_sel:DWORD dst_unused:UNUSED_PAD src0_sel:DWORD src1_sel:WORD_1
	v_fma_f16 v33, v35, v5, v33
	;; [unrolled: 9-line block ×3, first 2 shown]
	v_mul_f16_sdwa v32, v50, v8 dst_sel:DWORD dst_unused:UNUSED_PAD src0_sel:DWORD src1_sel:WORD_1
	v_fma_f16 v32, v48, v8, -v32
	v_mul_f16_sdwa v48, v48, v8 dst_sel:DWORD dst_unused:UNUSED_PAD src0_sel:DWORD src1_sel:WORD_1
	v_fma_f16 v48, v50, v8, v48
	v_mul_f16_sdwa v50, v49, v9 dst_sel:DWORD dst_unused:UNUSED_PAD src0_sel:DWORD src1_sel:WORD_1
	v_fma_f16 v50, v46, v9, -v50
	v_mul_f16_sdwa v46, v46, v9 dst_sel:DWORD dst_unused:UNUSED_PAD src0_sel:DWORD src1_sel:WORD_1
	v_fma_f16 v46, v49, v9, v46
	;; [unrolled: 4-line block ×8, first 2 shown]
	v_sub_f16_e32 v39, v16, v94
	v_sub_f16_e32 v94, v51, v95
	;; [unrolled: 1-line block ×6, first 2 shown]
	v_fma_f16 v93, v93, 2.0, -v53
	v_sub_f16_e32 v76, v39, v76
	v_sub_f16_e32 v53, v95, v53
	v_fma_f16 v16, v16, 2.0, -v39
	v_fma_f16 v59, v59, 2.0, -v95
	v_fma_f16 v92, v92, 2.0, -v64
	v_sub_f16_e32 v77, v62, v77
	v_sub_f16_e32 v54, v67, v54
	;; [unrolled: 1-line block ×4, first 2 shown]
	v_add_f16_e32 v75, v94, v75
	v_fma_f16 v39, v39, 2.0, -v76
	v_add_f16_e32 v64, v98, v64
	v_fma_f16 v95, v95, 2.0, -v53
	v_fma_f16 v51, v51, 2.0, -v94
	;; [unrolled: 1-line block ×9, first 2 shown]
	v_sub_f16_e32 v54, v71, v54
	v_sub_f16_e32 v52, v72, v52
	v_fma_f16 v99, v95, s4, v39
	v_sub_f16_e32 v61, v16, v61
	v_sub_f16_e32 v92, v59, v92
	;; [unrolled: 1-line block ×3, first 2 shown]
	v_add_f16_e32 v77, v74, v77
	v_fma_f16 v71, v71, 2.0, -v54
	v_sub_f16_e32 v63, v56, v63
	v_add_f16_e32 v78, v97, v78
	v_fma_f16 v72, v72, 2.0, -v52
	v_fma_f16 v102, v98, s4, v94
	v_fma_f16 v98, v98, s4, v99
	;; [unrolled: 1-line block ×3, first 2 shown]
	v_sub_f16_e32 v66, v51, v66
	v_fma_f16 v16, v16, 2.0, -v61
	v_sub_f16_e32 v93, v60, v93
	v_fma_f16 v59, v59, 2.0, -v92
	;; [unrolled: 2-line block ×3, first 2 shown]
	v_fma_f16 v74, v74, 2.0, -v77
	v_sub_f16_e32 v73, v58, v73
	v_fma_f16 v56, v56, 2.0, -v63
	v_fma_f16 v97, v97, 2.0, -v78
	v_fma_f16 v95, v95, s5, v102
	v_fma_f16 v102, v64, s5, v75
	v_fma_f16 v64, v64, s4, v99
	v_fma_f16 v99, v72, s4, v71
	v_fma_f16 v51, v51, 2.0, -v66
	v_fma_f16 v60, v60, 2.0, -v93
	;; [unrolled: 1-line block ×4, first 2 shown]
	v_sub_f16_e32 v59, v16, v59
	v_fma_f16 v53, v53, s5, v102
	v_sub_f16_e32 v56, v55, v56
	v_fma_f16 v102, v97, s4, v74
	v_fma_f16 v97, v97, s4, v99
	v_sub_f16_e32 v60, v51, v60
	v_fma_f16 v16, v16, 2.0, -v59
	v_fma_f16 v39, v39, 2.0, -v98
	v_sub_f16_e32 v93, v61, v93
	v_sub_f16_e32 v58, v57, v58
	v_fma_f16 v55, v55, 2.0, -v56
	v_fma_f16 v72, v72, s5, v102
	v_fma_f16 v71, v71, 2.0, -v97
	v_sub_f16_e32 v73, v62, v73
	v_fma_f16 v99, v52, s5, v54
	v_fma_f16 v51, v51, 2.0, -v60
	v_fma_f16 v94, v94, 2.0, -v95
	v_add_f16_e32 v92, v66, v92
	v_fma_f16 v61, v61, 2.0, -v93
	v_fma_f16 v57, v57, 2.0, -v58
	;; [unrolled: 1-line block ×3, first 2 shown]
	v_add_f16_e32 v63, v67, v63
	v_fma_f16 v62, v62, 2.0, -v73
	v_fma_f16 v102, v78, s5, v77
	v_fma_f16 v78, v78, s4, v99
	v_sub_f16_e32 v99, v16, v55
	v_fma_f16 v55, v71, s16, v39
	v_fma_f16 v66, v66, 2.0, -v92
	v_fma_f16 v76, v76, 2.0, -v64
	;; [unrolled: 1-line block ×3, first 2 shown]
	v_fma_f16 v52, v52, s5, v102
	v_fma_f16 v54, v54, 2.0, -v78
	v_sub_f16_e32 v102, v51, v57
	v_fma_f16 v57, v74, s16, v94
	v_fma_f16 v74, v74, s17, v55
	;; [unrolled: 1-line block ×3, first 2 shown]
	v_fma_f16 v75, v75, 2.0, -v53
	v_fma_f16 v77, v77, 2.0, -v52
	v_fma_f16 v71, v71, s18, v57
	v_fma_f16 v57, v67, s4, v66
	v_fma_f16 v67, v67, s4, v55
	v_fma_f16 v55, v54, s17, v76
	v_fma_f16 v62, v62, s5, v57
	v_fma_f16 v57, v77, s17, v75
	v_fma_f16 v77, v77, s16, v55
	v_fma_f16 v55, v72, s18, v95
	v_fma_f16 v119, v54, s19, v57
	v_fma_f16 v54, v97, s18, v98
	v_fma_f16 v97, v97, s19, v55
	v_fma_f16 v55, v63, s5, v92
	v_fma_f16 v72, v72, s16, v54
	v_fma_f16 v54, v73, s5, v93
	v_fma_f16 v73, v73, s5, v55
	v_fma_f16 v55, v52, s19, v53
	v_fma_f16 v63, v63, s4, v54
	v_fma_f16 v54, v78, s19, v64
	v_fma_f16 v78, v78, s18, v55
	v_sub_f16_e32 v32, v13, v32
	v_sub_f16_e32 v48, v14, v48
	v_sub_f16_e32 v45, v100, v45
	v_sub_f16_e32 v49, v96, v49
	v_sub_f16_e32 v44, v15, v44
	v_sub_f16_e32 v41, v101, v41
	v_fma_f16 v123, v52, s17, v54
	v_fma_f16 v124, v53, 2.0, -v78
	v_fma_f16 v13, v13, 2.0, -v32
	v_sub_f16_e32 v38, v17, v38
	v_fma_f16 v52, v100, 2.0, -v45
	v_fma_f16 v53, v96, 2.0, -v49
	v_sub_f16_e32 v20, v19, v20
	v_fma_f16 v54, v101, 2.0, -v41
	v_sub_f16_e32 v50, v31, v50
	v_sub_f16_e32 v46, v34, v46
	;; [unrolled: 1-line block ×8, first 2 shown]
	v_add_f16_e32 v45, v48, v45
	v_add_f16_e32 v41, v44, v41
	v_fma_f16 v14, v14, 2.0, -v48
	v_fma_f16 v17, v17, 2.0, -v38
	;; [unrolled: 1-line block ×12, first 2 shown]
	v_sub_f16_e32 v52, v13, v52
	v_sub_f16_e32 v38, v32, v38
	v_fma_f16 v48, v48, 2.0, -v45
	v_sub_f16_e32 v54, v53, v54
	v_sub_f16_e32 v20, v49, v20
	v_fma_f16 v44, v44, 2.0, -v41
	v_add_f16_e32 v121, v60, v56
	v_sub_f16_e32 v17, v14, v17
	v_fma_f16 v13, v13, 2.0, -v52
	v_fma_f16 v32, v32, 2.0, -v38
	v_sub_f16_e32 v19, v15, v19
	v_fma_f16 v53, v53, 2.0, -v54
	v_fma_f16 v49, v49, 2.0, -v20
	v_sub_f16_e32 v30, v31, v30
	v_sub_f16_e32 v33, v34, v33
	;; [unrolled: 1-line block ×4, first 2 shown]
	v_fma_f16 v56, v44, s4, v48
	v_fma_f16 v31, v31, 2.0, -v30
	v_fma_f16 v34, v34, 2.0, -v33
	v_sub_f16_e32 v37, v50, v37
	v_fma_f16 v36, v36, 2.0, -v35
	v_fma_f16 v28, v28, 2.0, -v29
	v_sub_f16_e32 v18, v47, v18
	v_sub_f16_e32 v55, v13, v53
	v_fma_f16 v53, v49, s4, v32
	v_fma_f16 v49, v49, s5, v56
	v_sub_f16_e32 v56, v52, v19
	v_add_f16_e32 v57, v17, v54
	v_fma_f16 v14, v14, 2.0, -v17
	v_fma_f16 v15, v15, 2.0, -v19
	v_add_f16_e32 v43, v46, v43
	v_fma_f16 v50, v50, 2.0, -v37
	v_add_f16_e32 v40, v42, v40
	v_fma_f16 v47, v47, 2.0, -v18
	v_fma_f16 v44, v44, s4, v53
	v_fma_f16 v19, v52, 2.0, -v56
	v_fma_f16 v53, v17, 2.0, -v57
	v_fma_f16 v17, v20, s5, v38
	v_fma_f16 v52, v41, s5, v45
	v_sub_f16_e32 v36, v31, v36
	v_sub_f16_e32 v28, v34, v28
	v_fma_f16 v46, v46, 2.0, -v43
	v_fma_f16 v42, v42, 2.0, -v40
	v_fma_f16 v41, v41, s4, v17
	v_fma_f16 v96, v20, s5, v52
	v_fma_f16 v17, v31, 2.0, -v36
	v_fma_f16 v31, v34, 2.0, -v28
	v_fma_f16 v34, v47, s4, v50
	v_sub_f16_e32 v15, v14, v15
	v_fma_f16 v13, v13, 2.0, -v55
	v_fma_f16 v20, v38, 2.0, -v41
	;; [unrolled: 1-line block ×3, first 2 shown]
	v_fma_f16 v45, v42, s4, v46
	v_fma_f16 v34, v42, s4, v34
	v_fma_f16 v14, v14, 2.0, -v15
	v_fma_f16 v32, v32, 2.0, -v44
	v_fma_f16 v42, v47, s5, v45
	v_fma_f16 v45, v50, 2.0, -v34
	v_sub_f16_e32 v29, v30, v29
	v_fma_f16 v47, v18, s5, v37
	v_sub_f16_e32 v106, v13, v17
	v_fma_f16 v48, v48, 2.0, -v49
	v_fma_f16 v46, v46, 2.0, -v42
	v_add_f16_e32 v35, v33, v35
	v_fma_f16 v30, v30, 2.0, -v29
	v_fma_f16 v50, v40, s5, v43
	v_fma_f16 v40, v40, s4, v47
	v_sub_f16_e32 v110, v14, v31
	v_fma_f16 v17, v13, 2.0, -v106
	v_fma_f16 v13, v45, s16, v32
	v_fma_f16 v33, v33, 2.0, -v35
	v_fma_f16 v47, v18, s5, v50
	v_fma_f16 v37, v37, 2.0, -v40
	v_fma_f16 v52, v14, 2.0, -v110
	v_fma_f16 v14, v46, s16, v48
	v_fma_f16 v107, v46, s17, v13
	;; [unrolled: 1-line block ×3, first 2 shown]
	v_fma_f16 v43, v43, 2.0, -v47
	v_fma_f16 v112, v45, s18, v14
	v_fma_f16 v14, v33, s4, v53
	;; [unrolled: 1-line block ×16, first 2 shown]
	s_movk_i32 s4, 0x1fc0
	v_fma_f16 v16, v16, 2.0, -v99
	v_fma_f16 v51, v51, 2.0, -v102
	;; [unrolled: 1-line block ×4, first 2 shown]
	v_fma_f16 v117, v29, s5, v14
	v_fma_f16 v14, v47, s19, v96
	;; [unrolled: 1-line block ×3, first 2 shown]
	v_and_or_b32 v13, v79, s4, v68
	v_fma_f16 v61, v61, 2.0, -v67
	v_fma_f16 v66, v66, 2.0, -v62
	;; [unrolled: 1-line block ×4, first 2 shown]
	v_sub_f16_e32 v120, v59, v58
	v_fma_f16 v118, v40, s18, v14
	v_lshlrev_b32_e32 v100, 2, v13
	v_pack_b32_f16 v13, v16, v51
	v_pack_b32_f16 v14, v39, v94
	v_fma_f16 v122, v59, 2.0, -v120
	v_fma_f16 v60, v60, 2.0, -v121
	;; [unrolled: 1-line block ×4, first 2 shown]
	ds_write2_b32 v100, v13, v14 offset1:4
	v_pack_b32_f16 v13, v61, v66
	v_pack_b32_f16 v14, v76, v75
	v_fma_f16 v93, v93, 2.0, -v63
	v_fma_f16 v92, v92, 2.0, -v73
	v_fma_f16 v64, v64, 2.0, -v123
	ds_write2_b32 v100, v13, v14 offset0:8 offset1:12
	v_pack_b32_f16 v13, v122, v60
	v_pack_b32_f16 v14, v98, v95
	ds_write2_b32 v100, v13, v14 offset0:16 offset1:20
	v_pack_b32_f16 v13, v93, v92
	v_pack_b32_f16 v14, v64, v124
	;; [unrolled: 3-line block ×5, first 2 shown]
	v_sub_f16_e32 v103, v55, v28
	v_add_f16_e32 v115, v15, v36
	ds_write2_b32 v100, v13, v14 offset0:48 offset1:52
	v_pack_b32_f16 v13, v63, v73
	v_pack_b32_f16 v14, v123, v78
	v_fma_f16 v18, v32, 2.0, -v107
	v_fma_f16 v59, v48, 2.0, -v112
	;; [unrolled: 1-line block ×14, first 2 shown]
	ds_write2_b32 v100, v13, v14 offset0:56 offset1:60
	v_lshlrev_b32_e32 v13, 4, v24
	buffer_store_dword v13, off, s[28:31], 0 offset:88 ; 4-byte Folded Spill
	s_and_saveexec_b64 s[4:5], s[2:3]
	s_cbranch_execz .LBB0_11
; %bb.10:
	s_movk_i32 s16, 0x3fc0
	v_and_b32_e32 v13, 3, v0
	v_lshlrev_b32_e32 v14, 4, v24
	v_and_or_b32 v13, v14, s16, v13
	s_mov_b32 s16, 0x5040100
	v_lshlrev_b32_e32 v13, 2, v13
	v_perm_b32 v14, v52, v17, s16
	v_perm_b32 v15, v59, v18, s16
	ds_write2_b32 v13, v14, v15 offset1:4
	v_perm_b32 v14, v58, v19, s16
	v_perm_b32 v15, v53, v20, s16
	ds_write2_b32 v13, v14, v15 offset0:8 offset1:12
	v_perm_b32 v14, v54, v32, s16
	v_perm_b32 v15, v55, v33, s16
	ds_write2_b32 v13, v14, v15 offset0:16 offset1:20
	;; [unrolled: 3-line block ×7, first 2 shown]
.LBB0_11:
	s_or_b64 exec, exec, s[4:5]
	s_waitcnt vmcnt(0) lgkmcnt(0)
	s_barrier
	ds_read2st64_b32 v[34:35], v70 offset1:8
	ds_read2st64_b32 v[50:51], v70 offset0:21 offset1:29
	ds_read2st64_b32 v[48:49], v70 offset0:42 offset1:50
	;; [unrolled: 1-line block ×7, first 2 shown]
	s_mov_b64 s[4:5], 0x53f
	v_cmp_lt_u64_e32 vcc, s[4:5], v[21:22]
	s_mov_b64 s[4:5], 0x540
	v_cmp_gt_u64_e64 s[4:5], s[4:5], v[21:22]
	s_and_saveexec_b64 s[16:17], s[4:5]
	s_cbranch_execz .LBB0_13
; %bb.12:
	ds_read2st64_b32 v[17:18], v70 offset0:16 offset1:37
	ds_read2st64_b32 v[19:20], v70 offset0:58 offset1:79
	;; [unrolled: 1-line block ×4, first 2 shown]
	s_waitcnt lgkmcnt(3)
	v_lshrrev_b32_e32 v52, 16, v17
	v_lshrrev_b32_e32 v59, 16, v18
	s_waitcnt lgkmcnt(2)
	v_lshrrev_b32_e32 v58, 16, v19
	v_lshrrev_b32_e32 v53, 16, v20
	;; [unrolled: 3-line block ×4, first 2 shown]
.LBB0_13:
	s_or_b64 exec, exec, s[16:17]
	v_and_b32_e32 v68, 63, v0
	v_mad_u64_u32 v[28:29], s[16:17], v68, 28, s[14:15]
	s_waitcnt lgkmcnt(6)
	v_lshrrev_b32_e32 v30, 16, v50
	s_waitcnt lgkmcnt(5)
	v_lshrrev_b32_e32 v63, 16, v48
	global_load_dwordx4 v[13:16], v[28:29], off offset:240
	s_waitcnt lgkmcnt(4)
	v_lshrrev_b32_e32 v64, 16, v46
	s_waitcnt lgkmcnt(3)
	v_lshrrev_b32_e32 v75, 16, v44
	;; [unrolled: 2-line block ×5, first 2 shown]
	v_lshrrev_b32_e32 v92, 16, v51
	v_lshrrev_b32_e32 v74, 16, v49
	;; [unrolled: 1-line block ×8, first 2 shown]
	s_mov_b32 s18, 0xb9a8
	s_movk_i32 s19, 0x39a8
	v_lshrrev_b32_e32 v60, 16, v35
	s_movk_i32 s16, 0xe00
	v_lshlrev_b32_e32 v24, 3, v24
	v_mov_b32_e32 v22, 0
	s_waitcnt vmcnt(0)
	v_mul_f16_sdwa v31, v30, v13 dst_sel:DWORD dst_unused:UNUSED_PAD src0_sel:DWORD src1_sel:WORD_1
	v_fma_f16 v31, v50, v13, -v31
	v_mul_f16_sdwa v50, v50, v13 dst_sel:DWORD dst_unused:UNUSED_PAD src0_sel:DWORD src1_sel:WORD_1
	v_fma_f16 v50, v30, v13, v50
	v_mul_f16_sdwa v30, v63, v14 dst_sel:DWORD dst_unused:UNUSED_PAD src0_sel:DWORD src1_sel:WORD_1
	v_fma_f16 v62, v48, v14, -v30
	v_mul_f16_sdwa v30, v48, v14 dst_sel:DWORD dst_unused:UNUSED_PAD src0_sel:DWORD src1_sel:WORD_1
	v_fma_f16 v63, v63, v14, v30
	;; [unrolled: 4-line block ×4, first 2 shown]
	global_load_dwordx3 v[28:30], v[28:29], off offset:256
	v_sub_f16_e32 v44, v61, v44
	s_waitcnt vmcnt(0)
	s_barrier
	v_mul_f16_sdwa v75, v76, v28 dst_sel:DWORD dst_unused:UNUSED_PAD src0_sel:DWORD src1_sel:WORD_1
	v_fma_f16 v75, v42, v28, -v75
	v_mul_f16_sdwa v42, v42, v28 dst_sel:DWORD dst_unused:UNUSED_PAD src0_sel:DWORD src1_sel:WORD_1
	v_fma_f16 v42, v76, v28, v42
	v_mul_f16_sdwa v76, v77, v29 dst_sel:DWORD dst_unused:UNUSED_PAD src0_sel:DWORD src1_sel:WORD_1
	v_fma_f16 v76, v40, v29, -v76
	v_mul_f16_sdwa v40, v40, v29 dst_sel:DWORD dst_unused:UNUSED_PAD src0_sel:DWORD src1_sel:WORD_1
	v_fma_f16 v77, v77, v29, v40
	;; [unrolled: 4-line block ×3, first 2 shown]
	v_mul_f16_sdwa v38, v92, v13 dst_sel:DWORD dst_unused:UNUSED_PAD src0_sel:DWORD src1_sel:WORD_1
	v_fma_f16 v38, v51, v13, -v38
	v_mul_f16_sdwa v40, v51, v13 dst_sel:DWORD dst_unused:UNUSED_PAD src0_sel:DWORD src1_sel:WORD_1
	v_mul_f16_sdwa v51, v74, v14 dst_sel:DWORD dst_unused:UNUSED_PAD src0_sel:DWORD src1_sel:WORD_1
	v_fma_f16 v51, v49, v14, -v51
	v_mul_f16_sdwa v49, v49, v14 dst_sel:DWORD dst_unused:UNUSED_PAD src0_sel:DWORD src1_sel:WORD_1
	v_fma_f16 v49, v74, v14, v49
	v_mul_f16_sdwa v74, v73, v15 dst_sel:DWORD dst_unused:UNUSED_PAD src0_sel:DWORD src1_sel:WORD_1
	v_fma_f16 v74, v47, v15, -v74
	v_mul_f16_sdwa v47, v47, v15 dst_sel:DWORD dst_unused:UNUSED_PAD src0_sel:DWORD src1_sel:WORD_1
	v_fma_f16 v47, v73, v15, v47
	;; [unrolled: 4-line block ×7, first 2 shown]
	v_mul_f16_sdwa v18, v58, v14 dst_sel:DWORD dst_unused:UNUSED_PAD src0_sel:DWORD src1_sel:WORD_1
	v_fma_f16 v40, v92, v13, v40
	v_fma_f16 v92, v19, v14, -v18
	v_mul_f16_sdwa v18, v19, v14 dst_sel:DWORD dst_unused:UNUSED_PAD src0_sel:DWORD src1_sel:WORD_1
	v_fma_f16 v19, v58, v14, v18
	v_mul_f16_sdwa v18, v53, v15 dst_sel:DWORD dst_unused:UNUSED_PAD src0_sel:DWORD src1_sel:WORD_1
	v_fma_f16 v58, v20, v15, -v18
	v_mul_f16_sdwa v18, v20, v15 dst_sel:DWORD dst_unused:UNUSED_PAD src0_sel:DWORD src1_sel:WORD_1
	v_fma_f16 v53, v53, v15, v18
	v_mul_f16_sdwa v18, v54, v16 dst_sel:DWORD dst_unused:UNUSED_PAD src0_sel:DWORD src1_sel:WORD_1
	v_fma_f16 v18, v32, v16, -v18
	v_mul_f16_sdwa v20, v32, v16 dst_sel:DWORD dst_unused:UNUSED_PAD src0_sel:DWORD src1_sel:WORD_1
	v_mul_f16_sdwa v32, v55, v28 dst_sel:DWORD dst_unused:UNUSED_PAD src0_sel:DWORD src1_sel:WORD_1
	v_fma_f16 v32, v33, v28, -v32
	v_mul_f16_sdwa v33, v33, v28 dst_sel:DWORD dst_unused:UNUSED_PAD src0_sel:DWORD src1_sel:WORD_1
	v_fma_f16 v20, v54, v16, v20
	v_fma_f16 v33, v55, v28, v33
	v_mul_f16_sdwa v54, v56, v29 dst_sel:DWORD dst_unused:UNUSED_PAD src0_sel:DWORD src1_sel:WORD_1
	v_mul_f16_sdwa v55, v57, v30 dst_sel:DWORD dst_unused:UNUSED_PAD src0_sel:DWORD src1_sel:WORD_1
	v_fma_f16 v54, v36, v29, -v54
	v_mul_f16_sdwa v36, v36, v29 dst_sel:DWORD dst_unused:UNUSED_PAD src0_sel:DWORD src1_sel:WORD_1
	v_fma_f16 v55, v37, v30, -v55
	v_mul_f16_sdwa v37, v37, v30 dst_sel:DWORD dst_unused:UNUSED_PAD src0_sel:DWORD src1_sel:WORD_1
	v_fma_f16 v36, v56, v29, v36
	v_fma_f16 v37, v57, v30, v37
	v_sub_f16_e32 v56, v34, v64
	v_fma_f16 v57, v61, 2.0, -v44
	v_sub_f16_e32 v61, v62, v76
	v_sub_f16_e32 v75, v31, v75
	;; [unrolled: 1-line block ×3, first 2 shown]
	v_fma_f16 v34, v34, 2.0, -v56
	v_fma_f16 v62, v62, 2.0, -v61
	;; [unrolled: 1-line block ×4, first 2 shown]
	v_sub_f16_e32 v42, v50, v42
	v_sub_f16_e32 v62, v34, v62
	;; [unrolled: 1-line block ×5, first 2 shown]
	v_fma_f16 v34, v34, 2.0, -v62
	v_add_f16_e32 v61, v44, v61
	v_fma_f16 v31, v31, 2.0, -v48
	v_add_f16_e32 v76, v42, v76
	v_fma_f16 v63, v63, 2.0, -v64
	v_fma_f16 v50, v50, 2.0, -v42
	;; [unrolled: 1-line block ×3, first 2 shown]
	v_sub_f16_e32 v64, v56, v64
	v_fma_f16 v44, v44, 2.0, -v61
	v_sub_f16_e32 v77, v75, v77
	v_fma_f16 v42, v42, 2.0, -v76
	;; [unrolled: 2-line block ×3, first 2 shown]
	v_fma_f16 v75, v75, 2.0, -v77
	v_fma_f16 v93, v34, 2.0, -v78
	v_fma_f16 v34, v42, s18, v44
	v_fma_f16 v31, v75, s18, v56
	;; [unrolled: 1-line block ×3, first 2 shown]
	v_sub_f16_e32 v46, v50, v46
	v_fma_f16 v94, v42, s18, v31
	v_fma_f16 v95, v44, 2.0, -v75
	v_fma_f16 v31, v77, s19, v64
	v_fma_f16 v34, v76, s19, v61
	v_sub_f16_e32 v44, v51, v71
	v_sub_f16_e32 v41, v49, v41
	v_fma_f16 v50, v50, 2.0, -v46
	v_sub_f16_e32 v96, v62, v46
	v_fma_f16 v76, v76, s18, v31
	v_fma_f16 v77, v77, s19, v34
	v_sub_f16_e32 v31, v35, v73
	v_sub_f16_e32 v34, v60, v45
	v_fma_f16 v45, v51, 2.0, -v44
	v_fma_f16 v46, v49, 2.0, -v41
	v_sub_f16_e32 v49, v38, v72
	v_sub_f16_e32 v51, v74, v67
	v_fma_f16 v35, v35, 2.0, -v31
	v_fma_f16 v42, v60, 2.0, -v34
	v_sub_f16_e32 v43, v40, v43
	v_fma_f16 v38, v38, 2.0, -v49
	v_fma_f16 v60, v74, 2.0, -v51
	v_sub_f16_e32 v39, v47, v39
	v_sub_f16_e32 v45, v35, v45
	v_add_f16_e32 v44, v34, v44
	v_sub_f16_e32 v60, v38, v60
	v_add_f16_e32 v51, v43, v51
	v_fma_f16 v40, v40, 2.0, -v43
	v_fma_f16 v47, v47, 2.0, -v39
	;; [unrolled: 1-line block ×3, first 2 shown]
	v_sub_f16_e32 v41, v31, v41
	v_fma_f16 v34, v34, 2.0, -v44
	v_fma_f16 v38, v38, 2.0, -v60
	v_sub_f16_e32 v39, v49, v39
	v_fma_f16 v43, v43, 2.0, -v51
	v_fma_f16 v31, v31, 2.0, -v41
	;; [unrolled: 1-line block ×3, first 2 shown]
	v_sub_f16_e32 v67, v35, v38
	v_fma_f16 v38, v43, s18, v34
	v_fma_f16 v72, v35, 2.0, -v67
	v_fma_f16 v35, v49, s18, v31
	v_fma_f16 v49, v49, s19, v38
	v_sub_f16_e32 v63, v57, v63
	v_sub_f16_e32 v46, v42, v46
	;; [unrolled: 1-line block ×3, first 2 shown]
	v_fma_f16 v98, v34, 2.0, -v49
	v_fma_f16 v34, v51, s19, v44
	v_fma_f16 v57, v57, 2.0, -v63
	v_fma_f16 v42, v42, 2.0, -v46
	;; [unrolled: 1-line block ×3, first 2 shown]
	v_fma_f16 v102, v39, s19, v34
	v_sub_f16_e32 v34, v17, v18
	v_sub_f16_e32 v38, v52, v20
	v_sub_f16_e32 v50, v57, v50
	v_sub_f16_e32 v71, v42, v40
	v_fma_f16 v18, v17, 2.0, -v34
	v_fma_f16 v17, v52, 2.0, -v38
	v_lshlrev_b32_e32 v52, 3, v0
	v_fma_f16 v57, v57, 2.0, -v50
	v_fma_f16 v56, v56, 2.0, -v94
	v_add_f16_e32 v48, v63, v48
	v_fma_f16 v73, v42, 2.0, -v71
	v_sub_f16_e32 v42, v53, v37
	v_and_or_b32 v52, v52, s16, v68
	v_fma_f16 v62, v62, 2.0, -v96
	v_fma_f16 v63, v63, 2.0, -v48
	;; [unrolled: 1-line block ×6, first 2 shown]
	v_lshlrev_b32_e32 v119, 2, v52
	v_pack_b32_f16 v52, v93, v57
	v_pack_b32_f16 v53, v56, v95
	ds_write2st64_b32 v119, v52, v53 offset1:1
	v_pack_b32_f16 v52, v62, v63
	v_pack_b32_f16 v53, v64, v61
	v_fma_f16 v74, v43, s18, v35
	ds_write2st64_b32 v119, v52, v53 offset0:2 offset1:3
	v_pack_b32_f16 v50, v78, v50
	v_pack_b32_f16 v52, v94, v75
	v_fma_f16 v97, v31, 2.0, -v74
	v_fma_f16 v31, v39, s19, v41
	ds_write2st64_b32 v119, v50, v52 offset0:4 offset1:5
	v_pack_b32_f16 v48, v96, v48
	v_pack_b32_f16 v50, v76, v77
	s_movk_i32 s16, 0x1e00
	v_sub_f16_e32 v47, v45, v47
	v_add_f16_e32 v60, v46, v60
	v_fma_f16 v51, v51, s18, v31
	ds_write2st64_b32 v119, v48, v50 offset0:6 offset1:7
	v_and_or_b32 v48, v24, s16, v68
	v_fma_f16 v99, v45, 2.0, -v47
	v_fma_f16 v101, v46, 2.0, -v60
	;; [unrolled: 1-line block ×3, first 2 shown]
	v_lshlrev_b32_e32 v120, 2, v48
	v_pack_b32_f16 v48, v72, v73
	v_pack_b32_f16 v50, v97, v98
	v_sub_f16_e32 v39, v92, v54
	v_sub_f16_e32 v35, v19, v36
	;; [unrolled: 1-line block ×5, first 2 shown]
	ds_write2st64_b32 v120, v48, v50 offset1:1
	v_pack_b32_f16 v48, v99, v101
	v_pack_b32_f16 v50, v121, v122
	v_fma_f16 v31, v92, 2.0, -v39
	v_fma_f16 v19, v19, 2.0, -v35
	;; [unrolled: 1-line block ×5, first 2 shown]
	v_sub_f16_e32 v35, v34, v35
	v_add_f16_e32 v37, v38, v39
	v_sub_f16_e32 v39, v41, v42
	v_add_f16_e32 v40, v43, v40
	ds_write2st64_b32 v120, v48, v50 offset0:2 offset1:3
	v_pack_b32_f16 v48, v67, v71
	v_pack_b32_f16 v49, v74, v49
	v_fma_f16 v36, v34, 2.0, -v35
	v_fma_f16 v38, v38, 2.0, -v37
	v_sub_f16_e32 v34, v32, v33
	v_sub_f16_e32 v33, v20, v44
	v_fma_f16 v42, v41, 2.0, -v39
	v_fma_f16 v44, v43, 2.0, -v40
	ds_write2st64_b32 v120, v48, v49 offset0:4 offset1:5
	v_pack_b32_f16 v47, v47, v60
	v_pack_b32_f16 v48, v51, v102
	v_sub_f16_e32 v31, v18, v31
	v_sub_f16_e32 v19, v17, v19
	v_fma_f16 v45, v42, s18, v36
	v_fma_f16 v46, v44, s18, v38
	;; [unrolled: 1-line block ×4, first 2 shown]
	ds_write2st64_b32 v120, v47, v48 offset0:6 offset1:7
	v_lshlrev_b32_e32 v47, 3, v21
	buffer_store_dword v47, off, s[28:31], 0 ; 4-byte Folded Spill
	s_and_saveexec_b64 s[16:17], vcc
	s_xor_b64 s[16:17], exec, s[16:17]
; %bb.14:
                                        ; implicit-def: $vgpr18
                                        ; implicit-def: $vgpr17
                                        ; implicit-def: $vgpr32
                                        ; implicit-def: $vgpr20
                                        ; implicit-def: $vgpr35
                                        ; implicit-def: $vgpr37
                                        ; implicit-def: $vgpr36
                                        ; implicit-def: $vgpr38
; %bb.15:
	s_or_saveexec_b64 s[16:17], s[16:17]
	v_fma_f16 v49, v44, s18, v45
	v_fma_f16 v121, v42, s19, v46
	v_sub_f16_e32 v50, v31, v33
	v_add_f16_e32 v122, v19, v34
	v_fma_f16 v51, v40, s18, v43
	v_fma_f16 v123, v39, s19, v41
	s_xor_b64 exec, exec, s[16:17]
	s_cbranch_execz .LBB0_17
; %bb.16:
	v_fma_f16 v22, v32, 2.0, -v34
	buffer_load_dword v32, off, s[28:31], 0 ; 4-byte Folded Reload
	v_fma_f16 v40, v19, 2.0, -v122
	v_fma_f16 v18, v18, 2.0, -v31
	;; [unrolled: 1-line block ×5, first 2 shown]
	v_sub_f16_e32 v31, v18, v22
	v_sub_f16_e32 v19, v17, v19
	s_movk_i32 s18, 0x2e00
	v_and_b32_e32 v20, 63, v0
	v_fma_f16 v36, v36, 2.0, -v49
	v_fma_f16 v38, v38, 2.0, -v121
	;; [unrolled: 1-line block ×6, first 2 shown]
	v_pack_b32_f16 v17, v18, v17
	v_pack_b32_f16 v18, v36, v38
	v_mov_b32_e32 v22, 0
	s_waitcnt vmcnt(0)
	v_and_or_b32 v20, v32, s18, v20
	v_lshlrev_b32_e32 v20, 2, v20
	ds_write2st64_b32 v20, v17, v18 offset1:1
	v_pack_b32_f16 v17, v39, v40
	v_pack_b32_f16 v18, v35, v37
	s_mov_b32 s18, 0x5040100
	ds_write2st64_b32 v20, v17, v18 offset0:2 offset1:3
	v_pack_b32_f16 v17, v31, v19
	v_perm_b32 v18, v121, v49, s18
	ds_write2st64_b32 v20, v17, v18 offset0:4 offset1:5
	v_perm_b32 v17, v122, v50, s18
	v_perm_b32 v18, v123, v51, s18
	ds_write2st64_b32 v20, v17, v18 offset0:6 offset1:7
.LBB0_17:
	s_or_b64 exec, exec, s[16:17]
	v_mad_u64_u32 v[34:35], s[18:19], v0, 24, s[14:15]
	s_waitcnt vmcnt(0) lgkmcnt(0)
	s_barrier
	ds_read2st64_b32 v[38:39], v70 offset1:8
	ds_read2st64_b32 v[36:37], v70 offset0:16 offset1:24
	global_load_dwordx4 v[17:20], v[34:35], off offset:2032
	ds_read2st64_b32 v[44:45], v70 offset0:48 offset1:64
	ds_read2st64_b32 v[58:59], v70 offset0:56 offset1:72
	;; [unrolled: 1-line block ×3, first 2 shown]
	s_waitcnt lgkmcnt(3)
	v_lshrrev_b32_e32 v32, 16, v37
	ds_read2st64_b32 v[42:43], v70 offset0:120 offset1:136
	s_waitcnt lgkmcnt(3)
	v_lshrrev_b32_e32 v33, 16, v44
	s_waitcnt lgkmcnt(2)
	v_lshrrev_b32_e32 v78, 16, v59
	;; [unrolled: 2-line block ×3, first 2 shown]
	ds_read2st64_b32 v[40:41], v70 offset0:144 offset1:160
	ds_read2st64_b32 v[54:55], v70 offset0:32 offset1:40
	s_waitcnt lgkmcnt(2)
	v_lshrrev_b32_e32 v94, 16, v42
	ds_read2st64_b32 v[52:53], v70 offset0:88 offset1:104
	v_lshrrev_b32_e32 v72, 16, v58
	s_waitcnt lgkmcnt(2)
	v_lshrrev_b32_e32 v93, 16, v40
	s_waitcnt lgkmcnt(1)
	v_lshrrev_b32_e32 v74, 16, v54
	ds_read2st64_b32 v[46:47], v70 offset0:112 offset1:128
	v_lshrrev_b32_e32 v71, 16, v56
	ds_read_b32 v31, v70 offset:38912
	s_waitcnt lgkmcnt(2)
	v_lshrrev_b32_e32 v64, 16, v53
	v_lshrrev_b32_e32 v73, 16, v55
	s_waitcnt lgkmcnt(1)
	v_lshrrev_b32_e32 v63, 16, v47
	v_lshrrev_b32_e32 v67, 16, v45
	;; [unrolled: 3-line block ×3, first 2 shown]
	v_lshrrev_b32_e32 v61, 16, v46
	v_lshrrev_b32_e32 v60, 16, v43
	;; [unrolled: 1-line block ×3, first 2 shown]
	s_movk_i32 s18, 0x2b26
	s_movk_i32 s19, 0x3b00
	s_mov_b32 s20, 0xbcab
	s_movk_i32 s21, 0x39e0
	s_mov_b32 s22, 0xb9e0
	;; [unrolled: 2-line block ×3, first 2 shown]
	s_movk_i32 s25, 0x370e
	v_lshlrev_b32_e32 v23, 3, v23
	s_add_u32 s16, s6, 0xa800
	s_addc_u32 s17, s7, 0
	v_lshlrev_b32_e32 v21, 2, v21
	s_waitcnt vmcnt(0)
	v_mul_f16_sdwa v75, v32, v17 dst_sel:DWORD dst_unused:UNUSED_PAD src0_sel:DWORD src1_sel:WORD_1
	v_fma_f16 v75, v37, v17, -v75
	v_mul_f16_sdwa v37, v37, v17 dst_sel:DWORD dst_unused:UNUSED_PAD src0_sel:DWORD src1_sel:WORD_1
	v_fma_f16 v76, v32, v17, v37
	v_mul_f16_sdwa v32, v33, v18 dst_sel:DWORD dst_unused:UNUSED_PAD src0_sel:DWORD src1_sel:WORD_1
	v_fma_f16 v37, v44, v18, -v32
	v_mul_f16_sdwa v32, v44, v18 dst_sel:DWORD dst_unused:UNUSED_PAD src0_sel:DWORD src1_sel:WORD_1
	v_fma_f16 v77, v33, v18, v32
	v_mul_f16_sdwa v32, v78, v19 dst_sel:DWORD dst_unused:UNUSED_PAD src0_sel:DWORD src1_sel:WORD_1
	v_fma_f16 v44, v59, v19, -v32
	v_mul_f16_sdwa v32, v59, v19 dst_sel:DWORD dst_unused:UNUSED_PAD src0_sel:DWORD src1_sel:WORD_1
	v_fma_f16 v59, v78, v19, v32
	v_mul_f16_sdwa v32, v95, v20 dst_sel:DWORD dst_unused:UNUSED_PAD src0_sel:DWORD src1_sel:WORD_1
	v_fma_f16 v92, v57, v20, -v32
	v_mul_f16_sdwa v32, v57, v20 dst_sel:DWORD dst_unused:UNUSED_PAD src0_sel:DWORD src1_sel:WORD_1
	v_fma_f16 v57, v95, v20, v32
	global_load_dwordx2 v[32:33], v[34:35], off offset:2048
	s_waitcnt vmcnt(0)
	s_barrier
	v_sub_co_u32_e32 v34, vcc, v34, v79
	v_subbrev_co_u32_e32 v35, vcc, 0, v35, vcc
	v_mov_b32_e32 v79, s15
	s_movk_i32 s15, 0x6000
	v_mul_f16_sdwa v78, v94, v32 dst_sel:DWORD dst_unused:UNUSED_PAD src0_sel:DWORD src1_sel:WORD_1
	v_fma_f16 v78, v42, v32, -v78
	v_mul_f16_sdwa v42, v42, v32 dst_sel:DWORD dst_unused:UNUSED_PAD src0_sel:DWORD src1_sel:WORD_1
	v_fma_f16 v42, v94, v32, v42
	v_mul_f16_sdwa v94, v93, v33 dst_sel:DWORD dst_unused:UNUSED_PAD src0_sel:DWORD src1_sel:WORD_1
	v_fma_f16 v94, v40, v33, -v94
	v_mul_f16_sdwa v40, v40, v33 dst_sel:DWORD dst_unused:UNUSED_PAD src0_sel:DWORD src1_sel:WORD_1
	v_fma_f16 v40, v93, v33, v40
	;; [unrolled: 4-line block ×14, first 2 shown]
	v_add_f16_e32 v48, v75, v94
	v_add_f16_e32 v95, v76, v40
	v_sub_f16_e32 v75, v75, v94
	v_sub_f16_e32 v40, v76, v40
	v_add_f16_e32 v76, v37, v78
	v_add_f16_e32 v94, v77, v42
	v_sub_f16_e32 v37, v37, v78
	v_sub_f16_e32 v42, v77, v42
	;; [unrolled: 4-line block ×4, first 2 shown]
	v_sub_f16_e32 v48, v48, v77
	v_sub_f16_e32 v95, v95, v78
	;; [unrolled: 1-line block ×4, first 2 shown]
	v_add_f16_e32 v98, v44, v37
	v_add_f16_e32 v99, v57, v42
	v_sub_f16_e32 v101, v44, v37
	v_sub_f16_e32 v102, v57, v42
	;; [unrolled: 1-line block ×4, first 2 shown]
	v_add_f16_e32 v59, v77, v59
	v_add_f16_e32 v77, v78, v92
	v_sub_f16_e32 v44, v75, v44
	v_sub_f16_e32 v57, v40, v57
	v_add_f16_e32 v75, v98, v75
	v_add_f16_e32 v40, v99, v40
	;; [unrolled: 1-line block ×3, first 2 shown]
	v_add_f16_sdwa v38, v38, v77 dst_sel:DWORD dst_unused:UNUSED_PAD src0_sel:WORD_1 src1_sel:DWORD
	v_mul_f16_e32 v48, 0x3a52, v48
	v_mul_f16_e32 v92, 0x3a52, v95
	;; [unrolled: 1-line block ×8, first 2 shown]
	v_fma_f16 v59, v59, s20, v78
	v_fma_f16 v77, v77, s20, v38
	;; [unrolled: 1-line block ×4, first 2 shown]
	v_fma_f16 v95, v96, s21, -v95
	v_fma_f16 v98, v97, s21, -v98
	;; [unrolled: 1-line block ×4, first 2 shown]
	v_fma_f16 v96, v44, s23, v99
	v_fma_f16 v97, v57, s23, v101
	v_fma_f16 v42, v42, s19, -v101
	v_fma_f16 v44, v44, s24, -v102
	;; [unrolled: 1-line block ×4, first 2 shown]
	v_add_f16_e32 v76, v76, v59
	v_add_f16_e32 v94, v94, v77
	;; [unrolled: 1-line block ×6, first 2 shown]
	v_fma_f16 v77, v75, s25, v96
	v_fma_f16 v92, v40, s25, v97
	;; [unrolled: 1-line block ×6, first 2 shown]
	v_add_f16_e32 v57, v92, v76
	v_sub_f16_e32 v75, v94, v77
	v_add_f16_e32 v96, v40, v48
	v_sub_f16_e32 v97, v59, v44
	v_sub_f16_e32 v40, v48, v40
	v_add_f16_e32 v44, v44, v59
	v_sub_f16_e32 v48, v76, v92
	v_add_f16_e32 v59, v77, v94
	v_add_f16_e32 v76, v93, v63
	;; [unrolled: 1-line block ×3, first 2 shown]
	v_sub_f16_e32 v31, v54, v31
	v_add_f16_e32 v54, v74, v64
	v_add_f16_e32 v92, v58, v47
	v_sub_f16_e32 v63, v93, v63
	v_sub_f16_e32 v64, v74, v64
	;; [unrolled: 1-line block ×3, first 2 shown]
	v_add_f16_e32 v58, v72, v71
	v_add_f16_e32 v74, v56, v53
	v_sub_f16_e32 v71, v71, v72
	v_sub_f16_e32 v53, v53, v56
	v_add_f16_e32 v56, v54, v76
	v_add_f16_e32 v72, v92, v77
	v_sub_f16_e32 v99, v95, v42
	v_add_f16_e32 v101, v37, v98
	v_add_f16_e32 v42, v42, v95
	v_sub_f16_e32 v37, v98, v37
	v_sub_f16_e32 v93, v54, v76
	;; [unrolled: 1-line block ×7, first 2 shown]
	v_add_f16_e32 v95, v71, v64
	v_add_f16_e32 v98, v53, v47
	v_sub_f16_e32 v102, v71, v64
	v_sub_f16_e32 v124, v53, v47
	;; [unrolled: 1-line block ×4, first 2 shown]
	v_add_f16_e32 v56, v58, v56
	v_add_f16_e32 v58, v74, v72
	v_sub_f16_e32 v71, v63, v71
	v_sub_f16_e32 v53, v31, v53
	v_add_f16_e32 v63, v95, v63
	v_add_f16_e32 v31, v98, v31
	;; [unrolled: 1-line block ×3, first 2 shown]
	v_add_f16_sdwa v39, v39, v58 dst_sel:DWORD dst_unused:UNUSED_PAD src0_sel:WORD_1 src1_sel:DWORD
	v_mul_f16_e32 v74, 0x3a52, v76
	v_mul_f16_e32 v76, 0x3a52, v77
	v_mul_f16_e32 v77, 0x2b26, v54
	v_mul_f16_e32 v95, 0x2b26, v92
	v_mul_f16_e32 v98, 0xb846, v102
	v_mul_f16_e32 v102, 0xb846, v124
	v_mul_f16_e32 v124, 0x3b00, v64
	v_mul_f16_e32 v125, 0x3b00, v47
	v_fma_f16 v56, v56, s20, v72
	v_fma_f16 v58, v58, s20, v39
	v_fma_f16 v54, v54, s18, v74
	v_fma_f16 v92, v92, s18, v76
	v_fma_f16 v77, v93, s21, -v77
	v_fma_f16 v95, v94, s21, -v95
	;; [unrolled: 1-line block ×4, first 2 shown]
	v_fma_f16 v93, v71, s23, v98
	v_fma_f16 v94, v53, s23, v102
	v_fma_f16 v64, v64, s19, -v98
	v_fma_f16 v47, v47, s19, -v102
	;; [unrolled: 1-line block ×4, first 2 shown]
	v_add_f16_e32 v54, v54, v56
	v_add_f16_e32 v92, v92, v58
	;; [unrolled: 1-line block ×6, first 2 shown]
	v_fma_f16 v74, v63, s25, v93
	v_fma_f16 v76, v31, s25, v94
	;; [unrolled: 1-line block ×6, first 2 shown]
	v_sub_f16_e32 v71, v92, v74
	v_add_f16_e32 v93, v31, v56
	v_sub_f16_e32 v94, v58, v63
	v_sub_f16_e32 v31, v56, v31
	v_add_f16_e32 v56, v63, v58
	v_add_f16_e32 v58, v74, v92
	;; [unrolled: 1-line block ×4, first 2 shown]
	v_sub_f16_e32 v60, v62, v60
	v_sub_f16_e32 v41, v55, v41
	v_add_f16_e32 v55, v73, v61
	v_add_f16_e32 v62, v45, v43
	v_pack_b32_f16 v38, v78, v38
	v_pack_b32_f16 v57, v57, v75
	v_sub_f16_e32 v61, v73, v61
	v_sub_f16_e32 v43, v45, v43
	v_add_f16_e32 v45, v67, v66
	v_add_f16_e32 v73, v52, v46
	v_sub_f16_e32 v66, v66, v67
	v_sub_f16_e32 v46, v46, v52
	v_add_f16_e32 v52, v55, v63
	v_add_f16_e32 v67, v62, v74
	ds_write2st64_b32 v70, v38, v57 offset1:8
	v_pack_b32_f16 v38, v96, v97
	v_pack_b32_f16 v57, v99, v101
	v_add_f16_e32 v53, v76, v54
	v_sub_f16_e32 v98, v77, v47
	v_add_f16_e32 v102, v64, v95
	v_add_f16_e32 v47, v47, v77
	v_sub_f16_e32 v64, v95, v64
	v_sub_f16_e32 v54, v54, v76
	;; [unrolled: 1-line block ×8, first 2 shown]
	v_add_f16_e32 v92, v66, v61
	v_add_f16_e32 v95, v46, v43
	v_sub_f16_e32 v124, v66, v61
	v_sub_f16_e32 v125, v46, v43
	;; [unrolled: 1-line block ×4, first 2 shown]
	v_add_f16_e32 v45, v45, v52
	v_add_f16_e32 v52, v73, v67
	ds_write2st64_b32 v70, v38, v57 offset0:16 offset1:24
	v_pack_b32_f16 v37, v42, v37
	v_pack_b32_f16 v38, v40, v44
	v_sub_f16_e32 v66, v60, v66
	v_sub_f16_e32 v46, v41, v46
	v_add_f16_e32 v60, v92, v60
	v_add_f16_e32 v41, v95, v41
	;; [unrolled: 1-line block ×3, first 2 shown]
	v_add_f16_sdwa v36, v36, v52 dst_sel:DWORD dst_unused:UNUSED_PAD src0_sel:WORD_1 src1_sel:DWORD
	v_mul_f16_e32 v63, 0x3a52, v63
	v_mul_f16_e32 v73, 0x3a52, v74
	;; [unrolled: 1-line block ×8, first 2 shown]
	ds_write2st64_b32 v70, v37, v38 offset0:32 offset1:40
	v_pack_b32_f16 v37, v48, v59
	v_pack_b32_f16 v38, v72, v39
	;; [unrolled: 1-line block ×3, first 2 shown]
	v_fma_f16 v45, v45, s20, v67
	v_fma_f16 v52, v52, s20, v36
	;; [unrolled: 1-line block ×4, first 2 shown]
	v_fma_f16 v74, v76, s21, -v74
	v_fma_f16 v92, v77, s21, -v92
	;; [unrolled: 1-line block ×4, first 2 shown]
	v_fma_f16 v76, v66, s23, v95
	v_fma_f16 v77, v46, s23, v124
	v_fma_f16 v61, v61, s19, -v95
	v_fma_f16 v43, v43, s19, -v124
	;; [unrolled: 1-line block ×4, first 2 shown]
	ds_write2st64_b32 v70, v37, v39 offset0:48 offset1:64
	v_pack_b32_f16 v37, v93, v94
	v_add_f16_e32 v55, v55, v45
	v_add_f16_e32 v62, v62, v52
	;; [unrolled: 1-line block ×6, first 2 shown]
	v_fma_f16 v63, v60, s25, v76
	v_fma_f16 v73, v41, s25, v77
	;; [unrolled: 1-line block ×6, first 2 shown]
	ds_write2st64_b32 v70, v38, v37 offset0:56 offset1:72
	v_pack_b32_f16 v37, v98, v102
	v_pack_b32_f16 v31, v31, v56
	v_add_f16_e32 v76, v41, v45
	v_sub_f16_e32 v77, v52, v60
	v_pack_b32_f16 v38, v47, v64
	ds_write2st64_b32 v70, v37, v31 offset0:80 offset1:96
	v_pack_b32_f16 v31, v54, v58
	v_add_f16_e32 v46, v73, v55
	v_sub_f16_e32 v66, v62, v63
	v_sub_f16_e32 v95, v74, v43
	v_add_f16_e32 v124, v61, v92
	ds_write2st64_b32 v70, v38, v31 offset0:88 offset1:104
	v_pack_b32_f16 v31, v67, v36
	v_pack_b32_f16 v37, v76, v77
	v_sub_f16_e32 v41, v45, v41
	v_add_f16_e32 v45, v60, v52
	v_pack_b32_f16 v36, v46, v66
	ds_write2st64_b32 v70, v31, v37 offset0:112 offset1:128
	v_pack_b32_f16 v31, v95, v124
	s_movk_i32 s18, 0x3000
	v_add_f16_e32 v43, v43, v74
	v_sub_f16_e32 v61, v92, v61
	v_sub_f16_e32 v52, v55, v73
	v_add_f16_e32 v55, v63, v62
	ds_write2st64_b32 v70, v36, v31 offset0:120 offset1:136
	v_pack_b32_f16 v36, v41, v45
	v_add_co_u32_e32 v34, vcc, s18, v34
	v_pack_b32_f16 v31, v43, v61
	ds_write_b32 v70, v36 offset:38912
	v_pack_b32_f16 v36, v52, v55
	v_addc_co_u32_e32 v35, vcc, 0, v35, vcc
	ds_write2st64_b32 v70, v31, v36 offset0:144 offset1:160
	s_waitcnt lgkmcnt(0)
	s_barrier
	global_load_dwordx2 v[34:35], v[34:35], off offset:2032
	ds_read2st64_b32 v[39:40], v70 offset0:56 offset1:72
	ds_read2st64_b32 v[63:64], v70 offset0:112 offset1:128
	v_add_co_u32_e32 v24, vcc, s14, v24
	ds_read2st64_b32 v[52:53], v70 offset0:48 offset1:64
	s_waitcnt lgkmcnt(2)
	v_lshrrev_b32_e32 v36, 16, v39
	s_waitcnt lgkmcnt(1)
	v_lshrrev_b32_e32 v37, 16, v63
	ds_read2st64_b32 v[41:42], v70 offset0:120 offset1:136
	v_lshrrev_b32_e32 v74, 16, v40
	s_waitcnt lgkmcnt(1)
	v_lshrrev_b32_e32 v38, 16, v53
	v_lshrrev_b32_e32 v76, 16, v64
	ds_read2st64_b32 v[45:46], v70 offset0:80 offset1:96
	s_waitcnt lgkmcnt(1)
	v_lshrrev_b32_e32 v71, 16, v41
	v_lshrrev_b32_e32 v43, 16, v42
	ds_read2st64_b32 v[60:61], v70 offset0:88 offset1:104
	ds_read2st64_b32 v[47:48], v70 offset0:144 offset1:160
	s_waitcnt lgkmcnt(2)
	v_lshrrev_b32_e32 v31, 16, v45
	ds_read_b32 v77, v70 offset:38912
	v_lshrrev_b32_e32 v75, 16, v46
	s_waitcnt lgkmcnt(2)
	v_lshrrev_b32_e32 v72, 16, v60
	s_waitcnt lgkmcnt(1)
	v_lshrrev_b32_e32 v44, 16, v47
	ds_read2st64_b32 v[58:59], v70 offset1:8
	s_waitcnt lgkmcnt(1)
	v_lshrrev_b32_e32 v78, 16, v77
	v_lshrrev_b32_e32 v94, 16, v48
	;; [unrolled: 1-line block ×3, first 2 shown]
	s_mov_b32 s19, 0xbaee
	s_waitcnt lgkmcnt(0)
	v_lshrrev_b32_e32 v73, 16, v58
	ds_read2st64_b32 v[56:57], v70 offset0:16 offset1:24
	v_lshrrev_b32_e32 v127, 16, v59
	ds_read2st64_b32 v[54:55], v70 offset0:32 offset1:40
	v_lshrrev_b32_e32 v66, 16, v52
	s_waitcnt lgkmcnt(1)
	v_lshrrev_b32_e32 v126, 16, v56
	v_lshrrev_b32_e32 v125, 16, v57
	s_waitcnt lgkmcnt(0)
	v_lshrrev_b32_e32 v124, 16, v54
	v_lshrrev_b32_e32 v67, 16, v55
	s_waitcnt vmcnt(0)
	v_mul_f16_sdwa v62, v36, v34 dst_sel:DWORD dst_unused:UNUSED_PAD src0_sel:DWORD src1_sel:WORD_1
	v_fma_f16 v95, v39, v34, -v62
	v_mul_f16_sdwa v39, v39, v34 dst_sel:DWORD dst_unused:UNUSED_PAD src0_sel:DWORD src1_sel:WORD_1
	v_fma_f16 v96, v36, v34, v39
	v_mul_f16_sdwa v36, v37, v35 dst_sel:DWORD dst_unused:UNUSED_PAD src0_sel:DWORD src1_sel:WORD_1
	v_fma_f16 v97, v63, v35, -v36
	v_mul_f16_sdwa v36, v63, v35 dst_sel:DWORD dst_unused:UNUSED_PAD src0_sel:DWORD src1_sel:WORD_1
	v_fma_f16 v98, v37, v35, v36
	v_addc_co_u32_e32 v37, vcc, 0, v79, vcc
	v_add_co_u32_e32 v36, vcc, s18, v24
	v_addc_co_u32_e32 v37, vcc, 0, v37, vcc
	global_load_dwordx2 v[36:37], v[36:37], off offset:2032
	s_waitcnt vmcnt(0)
	v_mul_f16_sdwa v24, v38, v36 dst_sel:DWORD dst_unused:UNUSED_PAD src0_sel:DWORD src1_sel:WORD_1
	v_mul_f16_sdwa v39, v53, v36 dst_sel:DWORD dst_unused:UNUSED_PAD src0_sel:DWORD src1_sel:WORD_1
	v_fma_f16 v24, v53, v36, -v24
	v_fma_f16 v53, v38, v36, v39
	v_mul_f16_sdwa v38, v71, v37 dst_sel:DWORD dst_unused:UNUSED_PAD src0_sel:DWORD src1_sel:WORD_1
	v_fma_f16 v62, v41, v37, -v38
	v_mul_f16_sdwa v38, v41, v37 dst_sel:DWORD dst_unused:UNUSED_PAD src0_sel:DWORD src1_sel:WORD_1
	v_fma_f16 v63, v71, v37, v38
	buffer_load_dword v38, off, s[28:31], 0 ; 4-byte Folded Reload
	s_waitcnt vmcnt(0)
	v_add_co_u32_e32 v38, vcc, s14, v38
	v_addc_co_u32_e32 v22, vcc, v79, v22, vcc
	v_add_co_u32_e32 v38, vcc, s18, v38
	v_addc_co_u32_e32 v39, vcc, 0, v22, vcc
	global_load_dwordx2 v[38:39], v[38:39], off offset:2032
	s_waitcnt vmcnt(0)
	v_mul_f16_sdwa v22, v74, v38 dst_sel:DWORD dst_unused:UNUSED_PAD src0_sel:DWORD src1_sel:WORD_1
	v_fma_f16 v22, v40, v38, -v22
	v_mul_f16_sdwa v40, v40, v38 dst_sel:DWORD dst_unused:UNUSED_PAD src0_sel:DWORD src1_sel:WORD_1
	v_fma_f16 v92, v74, v38, v40
	v_mul_f16_sdwa v40, v76, v39 dst_sel:DWORD dst_unused:UNUSED_PAD src0_sel:DWORD src1_sel:WORD_1
	v_fma_f16 v93, v64, v39, -v40
	v_mul_f16_sdwa v40, v64, v39 dst_sel:DWORD dst_unused:UNUSED_PAD src0_sel:DWORD src1_sel:WORD_1
	v_fma_f16 v99, v76, v39, v40
	v_lshlrev_b32_e32 v40, 3, v65
	v_add_co_u32_e32 v40, vcc, s14, v40
	v_addc_co_u32_e32 v41, vcc, 0, v79, vcc
	v_add_co_u32_e32 v40, vcc, s18, v40
	v_addc_co_u32_e32 v41, vcc, 0, v41, vcc
	global_load_dwordx2 v[40:41], v[40:41], off offset:2032
	s_waitcnt vmcnt(0)
	v_mul_f16_sdwa v64, v31, v40 dst_sel:DWORD dst_unused:UNUSED_PAD src0_sel:DWORD src1_sel:WORD_1
	v_fma_f16 v65, v45, v40, -v64
	v_mul_f16_sdwa v45, v45, v40 dst_sel:DWORD dst_unused:UNUSED_PAD src0_sel:DWORD src1_sel:WORD_1
	v_fma_f16 v64, v31, v40, v45
	v_mul_f16_sdwa v31, v43, v41 dst_sel:DWORD dst_unused:UNUSED_PAD src0_sel:DWORD src1_sel:WORD_1
	v_fma_f16 v31, v42, v41, -v31
	v_mul_f16_sdwa v42, v42, v41 dst_sel:DWORD dst_unused:UNUSED_PAD src0_sel:DWORD src1_sel:WORD_1
	v_fma_f16 v102, v43, v41, v42
	v_lshlrev_b32_e32 v42, 3, v80
	v_add_co_u32_e32 v42, vcc, s14, v42
	v_addc_co_u32_e32 v43, vcc, 0, v79, vcc
	v_add_co_u32_e32 v42, vcc, s18, v42
	v_addc_co_u32_e32 v43, vcc, 0, v43, vcc
	global_load_dwordx2 v[42:43], v[42:43], off offset:2032
	v_add_co_u32_e32 v23, vcc, s14, v23
	s_waitcnt vmcnt(0)
	v_mul_f16_sdwa v45, v72, v42 dst_sel:DWORD dst_unused:UNUSED_PAD src0_sel:DWORD src1_sel:WORD_1
	v_fma_f16 v71, v60, v42, -v45
	v_mul_f16_sdwa v45, v60, v42 dst_sel:DWORD dst_unused:UNUSED_PAD src0_sel:DWORD src1_sel:WORD_1
	v_fma_f16 v60, v72, v42, v45
	v_mul_f16_sdwa v45, v44, v43 dst_sel:DWORD dst_unused:UNUSED_PAD src0_sel:DWORD src1_sel:WORD_1
	v_fma_f16 v72, v47, v43, -v45
	v_mul_f16_sdwa v45, v47, v43 dst_sel:DWORD dst_unused:UNUSED_PAD src0_sel:DWORD src1_sel:WORD_1
	v_fma_f16 v74, v44, v43, v45
	v_addc_co_u32_e32 v45, vcc, 0, v79, vcc
	v_add_co_u32_e32 v44, vcc, s18, v23
	v_addc_co_u32_e32 v45, vcc, 0, v45, vcc
	global_load_dwordx2 v[44:45], v[44:45], off offset:2032
	s_waitcnt vmcnt(0)
	v_mul_f16_sdwa v23, v75, v44 dst_sel:DWORD dst_unused:UNUSED_PAD src0_sel:DWORD src1_sel:WORD_1
	v_fma_f16 v23, v46, v44, -v23
	v_mul_f16_sdwa v46, v46, v44 dst_sel:DWORD dst_unused:UNUSED_PAD src0_sel:DWORD src1_sel:WORD_1
	v_fma_f16 v75, v75, v44, v46
	v_mul_f16_sdwa v46, v78, v45 dst_sel:DWORD dst_unused:UNUSED_PAD src0_sel:DWORD src1_sel:WORD_1
	v_fma_f16 v76, v77, v45, -v46
	v_mul_f16_sdwa v46, v77, v45 dst_sel:DWORD dst_unused:UNUSED_PAD src0_sel:DWORD src1_sel:WORD_1
	v_fma_f16 v77, v78, v45, v46
	v_mov_b32_e32 v46, 0x6000
	v_lshl_or_b32 v46, v0, 3, v46
	v_add_co_u32_e32 v46, vcc, s14, v46
	v_addc_co_u32_e32 v47, vcc, 0, v79, vcc
	v_add_co_u32_e32 v46, vcc, s18, v46
	v_addc_co_u32_e32 v47, vcc, 0, v47, vcc
	global_load_dwordx2 v[46:47], v[46:47], off offset:2032
	s_movk_i32 s14, 0x3aee
	s_waitcnt vmcnt(0)
	v_mul_f16_sdwa v79, v94, v47 dst_sel:DWORD dst_unused:UNUSED_PAD src0_sel:DWORD src1_sel:WORD_1
	v_mul_f16_sdwa v78, v101, v46 dst_sel:DWORD dst_unused:UNUSED_PAD src0_sel:DWORD src1_sel:WORD_1
	v_fma_f16 v79, v48, v47, -v79
	v_mul_f16_sdwa v48, v48, v47 dst_sel:DWORD dst_unused:UNUSED_PAD src0_sel:DWORD src1_sel:WORD_1
	v_fma_f16 v78, v61, v46, -v78
	v_mul_f16_sdwa v61, v61, v46 dst_sel:DWORD dst_unused:UNUSED_PAD src0_sel:DWORD src1_sel:WORD_1
	v_fma_f16 v94, v94, v47, v48
	v_add_f16_e32 v48, v58, v95
	v_fma_f16 v61, v101, v46, v61
	v_add_f16_e32 v101, v48, v97
	v_add_f16_e32 v48, v95, v97
	v_fma_f16 v48, v48, -0.5, v58
	v_sub_f16_e32 v58, v96, v98
	v_fma_f16 v80, v58, s14, v48
	v_fma_f16 v58, v58, s19, v48
	v_add_f16_e32 v48, v73, v96
	v_add_f16_e32 v81, v48, v98
	v_add_f16_e32 v48, v96, v98
	v_fma_f16 v48, v48, -0.5, v73
	v_sub_f16_e32 v73, v95, v97
	v_fma_f16 v95, v73, s19, v48
	v_fma_f16 v73, v73, s14, v48
	v_add_f16_e32 v48, v59, v24
	;; [unrolled: 7-line block ×12, first 2 shown]
	v_add_f16_e32 v75, v48, v79
	v_add_f16_e32 v48, v78, v79
	v_pack_b32_f16 v58, v58, v73
	v_pack_b32_f16 v24, v59, v24
	;; [unrolled: 1-line block ×4, first 2 shown]
	v_fma_f16 v48, v48, -0.5, v52
	v_sub_f16_e32 v52, v61, v94
	v_pack_b32_f16 v59, v62, v127
	ds_write2st64_b32 v70, v58, v22 offset0:112 offset1:128
	v_pack_b32_f16 v22, v93, v126
	ds_write2st64_b32 v70, v24, v31 offset0:120 offset1:136
	v_pack_b32_f16 v24, v65, v125
	v_pack_b32_f16 v56, v72, v68
	v_fma_f16 v76, v52, s14, v48
	v_fma_f16 v48, v52, s19, v48
	v_add_f16_e32 v52, v66, v61
	v_add_f16_e32 v61, v61, v94
	ds_write2st64_b32 v70, v59, v22 offset0:16 offset1:24
	v_pack_b32_f16 v22, v99, v64
	ds_write2st64_b32 v70, v24, v56 offset0:32 offset1:40
	v_pack_b32_f16 v24, v74, v67
	v_add_f16_e32 v52, v52, v94
	v_fma_f16 v61, v61, -0.5, v66
	v_sub_f16_e32 v66, v78, v79
	ds_write2st64_b32 v70, v22, v24 offset0:80 offset1:96
	v_pack_b32_f16 v22, v55, v23
	v_fma_f16 v77, v66, s19, v61
	v_pack_b32_f16 v53, v97, v53
	ds_write_b32 v70, v22 offset:38912
	v_pack_b32_f16 v22, v75, v52
	v_fma_f16 v124, v66, s14, v61
	v_pack_b32_f16 v61, v101, v81
	v_pack_b32_f16 v73, v96, v98
	v_pack_b32_f16 v31, v102, v71
	ds_write2st64_b32 v70, v22, v53 offset0:48 offset1:64
	v_pack_b32_f16 v22, v76, v77
	v_pack_b32_f16 v66, v80, v95
	ds_write2st64_b32 v70, v61, v73 offset1:8
	v_pack_b32_f16 v61, v63, v92
	v_pack_b32_f16 v54, v54, v60
	ds_write2st64_b32 v70, v31, v22 offset0:88 offset1:104
	v_pack_b32_f16 v22, v48, v124
	v_add_co_u32_e32 v24, vcc, s16, v70
	v_mov_b32_e32 v23, s17
	ds_write2st64_b32 v70, v66, v61 offset0:56 offset1:72
	ds_write2st64_b32 v70, v54, v22 offset0:144 offset1:160
	s_waitcnt lgkmcnt(0)
	s_barrier
	v_addc_co_u32_e32 v58, vcc, 0, v23, vcc
	global_load_dword v23, v70, s[16:17]
	ds_read2st64_b32 v[53:54], v70 offset1:8
	global_load_dword v21, v21, s[16:17]
	s_movk_i32 s14, 0x2000
	ds_read2st64_b32 v[55:56], v70 offset0:32 offset1:42
	s_waitcnt lgkmcnt(1)
	v_lshrrev_b32_e32 v22, 16, v53
	s_waitcnt vmcnt(1)
	v_mul_f16_sdwa v31, v22, v23 dst_sel:DWORD dst_unused:UNUSED_PAD src0_sel:DWORD src1_sel:WORD_1
	v_mul_f16_sdwa v52, v53, v23 dst_sel:DWORD dst_unused:UNUSED_PAD src0_sel:DWORD src1_sel:WORD_1
	v_fma_f16 v31, v53, v23, -v31
	v_fma_f16 v22, v22, v23, v52
	v_pack_b32_f16 v31, v31, v22
	v_add_co_u32_e32 v22, vcc, s14, v24
	v_addc_co_u32_e32 v23, vcc, 0, v58, vcc
	global_load_dword v22, v[22:23], off offset:2560
	s_waitcnt lgkmcnt(0)
	v_lshrrev_b32_e32 v52, 16, v56
	s_movk_i32 s14, 0x5000
	v_add_co_u32_e32 v61, vcc, s14, v24
	v_addc_co_u32_e32 v62, vcc, 0, v58, vcc
	s_movk_i32 s14, 0x7000
	s_waitcnt vmcnt(0)
	v_mul_f16_sdwa v23, v52, v22 dst_sel:DWORD dst_unused:UNUSED_PAD src0_sel:DWORD src1_sel:WORD_1
	v_mul_f16_sdwa v53, v56, v22 dst_sel:DWORD dst_unused:UNUSED_PAD src0_sel:DWORD src1_sel:WORD_1
	v_fma_f16 v23, v56, v22, -v23
	v_fma_f16 v22, v52, v22, v53
	v_pack_b32_f16 v60, v23, v22
	global_load_dword v23, v[61:62], off offset:1024
	ds_read2st64_b32 v[56:57], v70 offset0:84 offset1:92
	global_load_dword v61, v[61:62], off offset:3072
	s_waitcnt lgkmcnt(0)
	v_lshrrev_b32_e32 v22, 16, v56
	s_waitcnt vmcnt(1)
	v_mul_f16_sdwa v52, v22, v23 dst_sel:DWORD dst_unused:UNUSED_PAD src0_sel:DWORD src1_sel:WORD_1
	v_mul_f16_sdwa v53, v56, v23 dst_sel:DWORD dst_unused:UNUSED_PAD src0_sel:DWORD src1_sel:WORD_1
	v_fma_f16 v52, v56, v23, -v52
	v_fma_f16 v22, v22, v23, v53
	v_pack_b32_f16 v56, v52, v22
	v_add_co_u32_e32 v22, vcc, s14, v24
	v_addc_co_u32_e32 v23, vcc, 0, v58, vcc
	global_load_dword v63, v[22:23], off offset:3584
	ds_read2st64_b32 v[52:53], v70 offset0:116 offset1:126
	s_mov_b32 s14, 0x8000
	s_waitcnt lgkmcnt(0)
	v_lshrrev_b32_e32 v59, 16, v53
	s_waitcnt vmcnt(0)
	v_mul_f16_sdwa v64, v59, v63 dst_sel:DWORD dst_unused:UNUSED_PAD src0_sel:DWORD src1_sel:WORD_1
	v_fma_f16 v64, v53, v63, -v64
	v_mul_f16_sdwa v53, v53, v63 dst_sel:DWORD dst_unused:UNUSED_PAD src0_sel:DWORD src1_sel:WORD_1
	v_fma_f16 v53, v59, v63, v53
	global_load_dword v63, v70, s[16:17] offset:2048
	v_pack_b32_f16 v59, v64, v53
	v_lshrrev_b32_e32 v53, 16, v54
	s_waitcnt vmcnt(0)
	v_mul_f16_sdwa v64, v53, v63 dst_sel:DWORD dst_unused:UNUSED_PAD src0_sel:DWORD src1_sel:WORD_1
	v_fma_f16 v64, v54, v63, -v64
	v_mul_f16_sdwa v54, v54, v63 dst_sel:DWORD dst_unused:UNUSED_PAD src0_sel:DWORD src1_sel:WORD_1
	v_fma_f16 v53, v53, v63, v54
	v_add_co_u32_e32 v63, vcc, s18, v24
	v_pack_b32_f16 v53, v64, v53
	v_addc_co_u32_e32 v64, vcc, 0, v58, vcc
	global_load_dword v65, v[63:64], off offset:512
	ds_write2st64_b32 v70, v31, v53 offset1:8
	ds_read2st64_b32 v[53:54], v70 offset0:50 offset1:58
	global_load_dword v63, v[63:64], off offset:2560
	s_waitcnt lgkmcnt(0)
	v_lshrrev_b32_e32 v31, 16, v53
	s_waitcnt vmcnt(1)
	v_mul_f16_sdwa v66, v31, v65 dst_sel:DWORD dst_unused:UNUSED_PAD src0_sel:DWORD src1_sel:WORD_1
	v_fma_f16 v66, v53, v65, -v66
	v_mul_f16_sdwa v53, v53, v65 dst_sel:DWORD dst_unused:UNUSED_PAD src0_sel:DWORD src1_sel:WORD_1
	v_fma_f16 v31, v31, v65, v53
	v_lshrrev_b32_e32 v53, 16, v57
	v_mul_f16_sdwa v62, v53, v61 dst_sel:DWORD dst_unused:UNUSED_PAD src0_sel:DWORD src1_sel:WORD_1
	v_fma_f16 v62, v57, v61, -v62
	v_mul_f16_sdwa v57, v57, v61 dst_sel:DWORD dst_unused:UNUSED_PAD src0_sel:DWORD src1_sel:WORD_1
	v_fma_f16 v53, v53, v61, v57
	v_add_co_u32_e32 v61, vcc, s14, v24
	v_pack_b32_f16 v53, v62, v53
	v_addc_co_u32_e32 v62, vcc, 0, v58, vcc
	global_load_dword v65, v[61:62], off offset:1536
	ds_write2st64_b32 v70, v56, v53 offset0:84 offset1:92
	ds_read2st64_b32 v[56:57], v70 offset0:134 offset1:142
	v_pack_b32_f16 v31, v66, v31
	global_load_dword v61, v[61:62], off offset:3584
	s_movk_i32 s14, 0x4000
	s_waitcnt lgkmcnt(0)
	v_lshrrev_b32_e32 v53, 16, v56
	s_waitcnt vmcnt(1)
	v_mul_f16_sdwa v66, v53, v65 dst_sel:DWORD dst_unused:UNUSED_PAD src0_sel:DWORD src1_sel:WORD_1
	v_fma_f16 v66, v56, v65, -v66
	v_mul_f16_sdwa v56, v56, v65 dst_sel:DWORD dst_unused:UNUSED_PAD src0_sel:DWORD src1_sel:WORD_1
	v_fma_f16 v53, v53, v65, v56
	v_pack_b32_f16 v56, v66, v53
	ds_read2st64_b32 v[65:66], v70 offset0:16 offset1:24
	s_waitcnt lgkmcnt(0)
	v_lshrrev_b32_e32 v53, 16, v65
	v_mul_f16_sdwa v67, v53, v21 dst_sel:DWORD dst_unused:UNUSED_PAD src0_sel:DWORD src1_sel:WORD_1
	v_fma_f16 v67, v65, v21, -v67
	v_mul_f16_sdwa v65, v65, v21 dst_sel:DWORD dst_unused:UNUSED_PAD src0_sel:DWORD src1_sel:WORD_1
	v_fma_f16 v21, v53, v21, v65
	v_lshrrev_b32_e32 v53, 16, v54
	v_mul_f16_sdwa v64, v53, v63 dst_sel:DWORD dst_unused:UNUSED_PAD src0_sel:DWORD src1_sel:WORD_1
	v_fma_f16 v64, v54, v63, -v64
	v_mul_f16_sdwa v54, v54, v63 dst_sel:DWORD dst_unused:UNUSED_PAD src0_sel:DWORD src1_sel:WORD_1
	v_fma_f16 v53, v53, v63, v54
	v_add_co_u32_e32 v63, vcc, s15, v24
	v_pack_b32_f16 v53, v64, v53
	v_addc_co_u32_e32 v64, vcc, 0, v58, vcc
	global_load_dword v65, v[63:64], off offset:1024
	ds_write2st64_b32 v70, v31, v53 offset0:50 offset1:58
	ds_read2st64_b32 v[53:54], v70 offset0:100 offset1:108
	v_pack_b32_f16 v21, v67, v21
	s_waitcnt lgkmcnt(0)
	v_lshrrev_b32_e32 v31, 16, v53
	s_waitcnt vmcnt(0)
	v_mul_f16_sdwa v67, v31, v65 dst_sel:DWORD dst_unused:UNUSED_PAD src0_sel:DWORD src1_sel:WORD_1
	v_fma_f16 v67, v53, v65, -v67
	v_mul_f16_sdwa v53, v53, v65 dst_sel:DWORD dst_unused:UNUSED_PAD src0_sel:DWORD src1_sel:WORD_1
	v_fma_f16 v31, v31, v65, v53
	v_lshrrev_b32_e32 v53, 16, v57
	v_mul_f16_sdwa v62, v53, v61 dst_sel:DWORD dst_unused:UNUSED_PAD src0_sel:DWORD src1_sel:WORD_1
	v_fma_f16 v62, v57, v61, -v62
	v_mul_f16_sdwa v57, v57, v61 dst_sel:DWORD dst_unused:UNUSED_PAD src0_sel:DWORD src1_sel:WORD_1
	v_fma_f16 v53, v53, v61, v57
	v_pack_b32_f16 v53, v62, v53
	ds_write2st64_b32 v70, v56, v53 offset0:134 offset1:142
	buffer_load_dword v56, off, s[28:31], 0 offset:80 ; 4-byte Folded Reload
	v_lshrrev_b32_e32 v53, 16, v66
	v_add_co_u32_e32 v65, vcc, s14, v24
	s_mov_b32 s14, 0x9000
	v_pack_b32_f16 v31, v67, v31
	s_waitcnt vmcnt(0)
	global_load_dword v56, v56, s[16:17]
	s_waitcnt vmcnt(0)
	v_mul_f16_sdwa v57, v53, v56 dst_sel:DWORD dst_unused:UNUSED_PAD src0_sel:DWORD src1_sel:WORD_1
	v_mul_f16_sdwa v61, v66, v56 dst_sel:DWORD dst_unused:UNUSED_PAD src0_sel:DWORD src1_sel:WORD_1
	v_fma_f16 v57, v66, v56, -v57
	v_fma_f16 v53, v53, v56, v61
	v_pack_b32_f16 v53, v57, v53
	v_addc_co_u32_e32 v66, vcc, 0, v58, vcc
	ds_write2st64_b32 v70, v21, v53 offset0:16 offset1:24
	global_load_dword v53, v[65:66], off offset:512
	ds_read2st64_b32 v[61:62], v70 offset0:66 offset1:74
	s_waitcnt lgkmcnt(0)
	v_lshrrev_b32_e32 v21, 16, v61
	s_waitcnt vmcnt(0)
	v_mul_f16_sdwa v56, v21, v53 dst_sel:DWORD dst_unused:UNUSED_PAD src0_sel:DWORD src1_sel:WORD_1
	v_mul_f16_sdwa v57, v61, v53 dst_sel:DWORD dst_unused:UNUSED_PAD src0_sel:DWORD src1_sel:WORD_1
	v_fma_f16 v56, v61, v53, -v56
	v_fma_f16 v21, v21, v53, v57
	global_load_dword v53, v[63:64], off offset:3072
	v_pack_b32_f16 v61, v56, v21
	v_lshrrev_b32_e32 v21, 16, v54
	s_waitcnt vmcnt(0)
	v_mul_f16_sdwa v56, v21, v53 dst_sel:DWORD dst_unused:UNUSED_PAD src0_sel:DWORD src1_sel:WORD_1
	v_fma_f16 v56, v54, v53, -v56
	v_mul_f16_sdwa v54, v54, v53 dst_sel:DWORD dst_unused:UNUSED_PAD src0_sel:DWORD src1_sel:WORD_1
	v_fma_f16 v21, v21, v53, v54
	v_pack_b32_f16 v21, v56, v21
	v_add_co_u32_e32 v56, vcc, s14, v24
	v_addc_co_u32_e32 v57, vcc, 0, v58, vcc
	ds_write2st64_b32 v70, v31, v21 offset0:100 offset1:108
	global_load_dword v31, v[56:57], off offset:1536
	ds_read2st64_b32 v[53:54], v70 offset0:150 offset1:158
	s_waitcnt lgkmcnt(0)
	v_lshrrev_b32_e32 v21, 16, v53
	s_waitcnt vmcnt(0)
	v_mul_f16_sdwa v63, v21, v31 dst_sel:DWORD dst_unused:UNUSED_PAD src0_sel:DWORD src1_sel:WORD_1
	v_fma_f16 v63, v53, v31, -v63
	v_mul_f16_sdwa v53, v53, v31 dst_sel:DWORD dst_unused:UNUSED_PAD src0_sel:DWORD src1_sel:WORD_1
	v_fma_f16 v21, v21, v31, v53
	buffer_load_dword v53, off, s[28:31], 0 offset:76 ; 4-byte Folded Reload
	v_lshrrev_b32_e32 v31, 16, v55
	v_pack_b32_f16 v21, v63, v21
	s_waitcnt vmcnt(0)
	global_load_dword v53, v53, s[16:17]
	s_waitcnt vmcnt(0)
	v_mul_f16_sdwa v63, v31, v53 dst_sel:DWORD dst_unused:UNUSED_PAD src0_sel:DWORD src1_sel:WORD_1
	v_fma_f16 v63, v55, v53, -v63
	v_mul_f16_sdwa v55, v55, v53 dst_sel:DWORD dst_unused:UNUSED_PAD src0_sel:DWORD src1_sel:WORD_1
	v_fma_f16 v31, v31, v53, v55
	global_load_dword v53, v[65:66], off offset:2560
	v_pack_b32_f16 v31, v63, v31
	ds_write2st64_b32 v70, v31, v60 offset0:32 offset1:42
	v_lshrrev_b32_e32 v31, 16, v62
	s_waitcnt vmcnt(0)
	v_mul_f16_sdwa v55, v31, v53 dst_sel:DWORD dst_unused:UNUSED_PAD src0_sel:DWORD src1_sel:WORD_1
	v_mul_f16_sdwa v60, v62, v53 dst_sel:DWORD dst_unused:UNUSED_PAD src0_sel:DWORD src1_sel:WORD_1
	v_fma_f16 v55, v62, v53, -v55
	v_fma_f16 v31, v31, v53, v60
	global_load_dword v53, v[22:23], off offset:1024
	v_pack_b32_f16 v31, v55, v31
	ds_write2st64_b32 v70, v61, v31 offset0:66 offset1:74
	v_lshrrev_b32_e32 v31, 16, v52
	s_waitcnt vmcnt(0)
	v_mul_f16_sdwa v55, v31, v53 dst_sel:DWORD dst_unused:UNUSED_PAD src0_sel:DWORD src1_sel:WORD_1
	v_fma_f16 v55, v52, v53, -v55
	v_mul_f16_sdwa v52, v52, v53 dst_sel:DWORD dst_unused:UNUSED_PAD src0_sel:DWORD src1_sel:WORD_1
	v_fma_f16 v31, v31, v53, v52
	global_load_dword v52, v[56:57], off offset:3584
	v_pack_b32_f16 v31, v55, v31
	ds_write2st64_b32 v70, v31, v59 offset0:116 offset1:126
	v_lshrrev_b32_e32 v31, 16, v54
	s_waitcnt vmcnt(0)
	v_mul_f16_sdwa v53, v31, v52 dst_sel:DWORD dst_unused:UNUSED_PAD src0_sel:DWORD src1_sel:WORD_1
	v_fma_f16 v53, v54, v52, -v53
	v_mul_f16_sdwa v54, v54, v52 dst_sel:DWORD dst_unused:UNUSED_PAD src0_sel:DWORD src1_sel:WORD_1
	v_fma_f16 v31, v31, v52, v54
	v_pack_b32_f16 v31, v53, v31
	ds_write2st64_b32 v70, v21, v31 offset0:150 offset1:158
	s_and_saveexec_b64 s[14:15], s[0:1]
	s_cbranch_execz .LBB0_19
; %bb.18:
	buffer_load_dword v21, off, s[28:31], 0 offset:16 ; 4-byte Folded Reload
	v_add_co_u32_e32 v52, vcc, 0x5000, v24
	v_addc_co_u32_e32 v53, vcc, 0, v58, vcc
	global_load_dword v54, v[52:53], off offset:512
	v_add_co_u32_e32 v52, vcc, 0xa000, v24
	v_addc_co_u32_e32 v53, vcc, 0, v58, vcc
	s_waitcnt vmcnt(1)
	global_load_dword v31, v21, s[16:17]
	s_nop 0
	global_load_dword v52, v[52:53], off offset:1536
	s_nop 0
	global_load_dword v53, v[22:23], off offset:3072
	ds_read2st64_b32 v[21:22], v70 offset0:40 offset1:82
	ds_read2st64_b32 v[23:24], v70 offset0:124 offset1:166
	s_waitcnt lgkmcnt(1)
	v_lshrrev_b32_e32 v55, 16, v21
	v_lshrrev_b32_e32 v56, 16, v22
	s_waitcnt lgkmcnt(0)
	v_lshrrev_b32_e32 v57, 16, v23
	v_lshrrev_b32_e32 v58, 16, v24
	s_waitcnt vmcnt(2)
	v_mul_f16_sdwa v59, v55, v31 dst_sel:DWORD dst_unused:UNUSED_PAD src0_sel:DWORD src1_sel:WORD_1
	v_mul_f16_sdwa v60, v21, v31 dst_sel:DWORD dst_unused:UNUSED_PAD src0_sel:DWORD src1_sel:WORD_1
	v_fma_f16 v21, v21, v31, -v59
	v_fma_f16 v31, v55, v31, v60
	v_pack_b32_f16 v21, v21, v31
	v_mul_f16_sdwa v31, v56, v54 dst_sel:DWORD dst_unused:UNUSED_PAD src0_sel:DWORD src1_sel:WORD_1
	v_mul_f16_sdwa v55, v22, v54 dst_sel:DWORD dst_unused:UNUSED_PAD src0_sel:DWORD src1_sel:WORD_1
	v_fma_f16 v22, v22, v54, -v31
	v_fma_f16 v31, v56, v54, v55
	s_waitcnt vmcnt(0)
	v_mul_f16_sdwa v54, v57, v53 dst_sel:DWORD dst_unused:UNUSED_PAD src0_sel:DWORD src1_sel:WORD_1
	v_mul_f16_sdwa v55, v23, v53 dst_sel:DWORD dst_unused:UNUSED_PAD src0_sel:DWORD src1_sel:WORD_1
	;; [unrolled: 1-line block ×4, first 2 shown]
	v_pack_b32_f16 v22, v22, v31
	v_fma_f16 v23, v23, v53, -v54
	v_fma_f16 v31, v57, v53, v55
	v_fma_f16 v24, v24, v52, -v56
	v_fma_f16 v52, v58, v52, v59
	ds_write2st64_b32 v70, v21, v22 offset0:40 offset1:82
	v_pack_b32_f16 v21, v23, v31
	v_pack_b32_f16 v22, v24, v52
	ds_write2st64_b32 v70, v21, v22 offset0:124 offset1:166
.LBB0_19:
	s_or_b64 exec, exec, s[14:15]
	s_waitcnt lgkmcnt(0)
	s_barrier
	ds_read2st64_b32 v[56:57], v70 offset1:8
	ds_read2st64_b32 v[23:24], v70 offset0:32 offset1:42
	ds_read2st64_b32 v[66:67], v70 offset0:84 offset1:92
	;; [unrolled: 1-line block ×9, first 2 shown]
	s_and_saveexec_b64 s[14:15], s[0:1]
	s_cbranch_execz .LBB0_21
; %bb.20:
	ds_read2st64_b32 v[48:49], v70 offset0:40 offset1:82
	ds_read2st64_b32 v[50:51], v70 offset0:124 offset1:166
	s_waitcnt lgkmcnt(1)
	v_lshrrev_b32_e32 v124, 16, v48
	v_lshrrev_b32_e32 v121, 16, v49
	s_waitcnt lgkmcnt(0)
	v_lshrrev_b32_e32 v122, 16, v50
	v_lshrrev_b32_e32 v123, 16, v51
.LBB0_21:
	s_or_b64 exec, exec, s[14:15]
	s_waitcnt lgkmcnt(7)
	v_pk_add_f16 v66, v56, v66 neg_lo:[0,1] neg_hi:[0,1]
	s_waitcnt lgkmcnt(6)
	v_pk_add_f16 v68, v24, v59 neg_lo:[0,1] neg_hi:[0,1]
	v_lshrrev_b32_e32 v31, 16, v66
	v_sub_f16_e32 v72, v31, v68
	v_pk_add_f16 v75, v57, v67 neg_lo:[0,1] neg_hi:[0,1]
	v_fma_f16 v74, v31, 2.0, -v72
	s_waitcnt lgkmcnt(4)
	v_pk_add_f16 v76, v54, v64 neg_lo:[0,1] neg_hi:[0,1]
	v_lshrrev_b32_e32 v31, 16, v75
	v_sub_f16_e32 v78, v31, v76
	s_waitcnt lgkmcnt(2)
	v_pk_add_f16 v81, v21, v62 neg_lo:[0,1] neg_hi:[0,1]
	v_fma_f16 v80, v31, 2.0, -v78
	v_pk_add_f16 v92, v55, v65 neg_lo:[0,1] neg_hi:[0,1]
	v_lshrrev_b32_e32 v31, 16, v81
	v_sub_f16_e32 v94, v31, v92
	v_pk_add_f16 v97, v22, v63 neg_lo:[0,1] neg_hi:[0,1]
	v_fma_f16 v96, v31, 2.0, -v94
	s_waitcnt lgkmcnt(0)
	v_pk_add_f16 v98, v52, v60 neg_lo:[0,1] neg_hi:[0,1]
	v_lshrrev_b32_e32 v31, 16, v97
	v_pk_add_f16 v59, v23, v58 neg_lo:[0,1] neg_hi:[0,1]
	v_sub_f16_e32 v101, v31, v98
	v_pk_add_f16 v58, v53, v61 neg_lo:[0,1] neg_hi:[0,1]
	v_lshrrev_b32_e32 v60, 16, v59
	v_fma_f16 v125, v31, 2.0, -v101
	v_pk_fma_f16 v126, v23, 2.0, v59 op_sel_hi:[1,0,1] neg_lo:[0,0,1] neg_hi:[0,0,1]
	v_pk_fma_f16 v23, v53, 2.0, v58 op_sel_hi:[1,0,1] neg_lo:[0,0,1] neg_hi:[0,0,1]
	v_add_f16_sdwa v31, v59, v58 dst_sel:DWORD dst_unused:UNUSED_PAD src0_sel:DWORD src1_sel:WORD_1
	v_sub_f16_e32 v58, v60, v58
	v_sub_f16_e32 v61, v48, v50
	;; [unrolled: 1-line block ×3, first 2 shown]
	v_add_f16_sdwa v71, v66, v68 dst_sel:DWORD dst_unused:UNUSED_PAD src0_sel:DWORD src1_sel:WORD_1
	v_fma_f16 v53, v59, 2.0, -v31
	v_fma_f16 v59, v60, 2.0, -v58
	v_sub_f16_e32 v63, v124, v122
	v_fma_f16 v60, v48, 2.0, -v61
	v_sub_f16_e32 v65, v121, v123
	v_fma_f16 v48, v49, 2.0, -v64
	v_pk_fma_f16 v56, v56, 2.0, v66 op_sel_hi:[1,0,1] neg_lo:[0,0,1] neg_hi:[0,0,1]
	v_pk_fma_f16 v24, v24, 2.0, v68 op_sel_hi:[1,0,1] neg_lo:[0,0,1] neg_hi:[0,0,1]
	v_fma_f16 v73, v66, 2.0, -v71
	v_fma_f16 v62, v124, 2.0, -v63
	;; [unrolled: 1-line block ×3, first 2 shown]
	v_sub_f16_e32 v48, v60, v48
	v_pk_add_f16 v66, v56, v24 neg_lo:[0,1] neg_hi:[0,1]
	v_sub_f16_e32 v50, v62, v49
	v_fma_f16 v51, v60, 2.0, -v48
	v_add_f16_e32 v49, v65, v61
	v_sub_f16_e32 v60, v63, v64
	v_pk_fma_f16 v64, v56, 2.0, v66 op_sel_hi:[1,0,1] neg_lo:[0,0,1] neg_hi:[0,0,1]
	v_pack_b32_f16 v67, v71, v72
	v_pack_b32_f16 v65, v73, v74
	v_lshlrev_b32_e32 v24, 4, v0
	s_barrier
	ds_write_b128 v24, v[64:67]
	v_pk_fma_f16 v24, v57, 2.0, v75 op_sel_hi:[1,0,1] neg_lo:[0,0,1] neg_hi:[0,0,1]
	v_pk_fma_f16 v54, v54, 2.0, v76 op_sel_hi:[1,0,1] neg_lo:[0,0,1] neg_hi:[0,0,1]
	v_pk_add_f16 v66, v24, v54 neg_lo:[0,1] neg_hi:[0,1]
	v_pk_fma_f16 v64, v24, 2.0, v66 op_sel_hi:[1,0,1] neg_lo:[0,0,1] neg_hi:[0,0,1]
	buffer_load_dword v24, off, s[28:31], 0 offset:60 ; 4-byte Folded Reload
	v_add_f16_sdwa v77, v75, v76 dst_sel:DWORD dst_unused:UNUSED_PAD src0_sel:DWORD src1_sel:WORD_1
	v_fma_f16 v79, v75, 2.0, -v77
	v_pack_b32_f16 v67, v77, v78
	v_pack_b32_f16 v65, v79, v80
	v_pk_fma_f16 v21, v21, 2.0, v81 op_sel_hi:[1,0,1] neg_lo:[0,0,1] neg_hi:[0,0,1]
	v_add_f16_sdwa v93, v81, v92 dst_sel:DWORD dst_unused:UNUSED_PAD src0_sel:DWORD src1_sel:WORD_1
	v_fma_f16 v95, v81, 2.0, -v93
	v_pack_b32_f16 v57, v93, v94
	v_add_f16_sdwa v99, v97, v98 dst_sel:DWORD dst_unused:UNUSED_PAD src0_sel:DWORD src1_sel:WORD_1
	v_fma_f16 v102, v97, 2.0, -v99
	v_pk_add_f16 v23, v126, v23 neg_lo:[0,1] neg_hi:[0,1]
	v_fma_f16 v62, v62, 2.0, -v50
	v_fma_f16 v61, v61, 2.0, -v49
	;; [unrolled: 1-line block ×3, first 2 shown]
	s_waitcnt vmcnt(0)
	ds_write_b128 v24, v[64:67]
	v_pk_fma_f16 v24, v55, 2.0, v92 op_sel_hi:[1,0,1] neg_lo:[0,0,1] neg_hi:[0,0,1]
	v_pk_add_f16 v56, v21, v24 neg_lo:[0,1] neg_hi:[0,1]
	v_pk_fma_f16 v54, v21, 2.0, v56 op_sel_hi:[1,0,1] neg_lo:[0,0,1] neg_hi:[0,0,1]
	buffer_load_dword v21, off, s[28:31], 0 offset:64 ; 4-byte Folded Reload
	v_pack_b32_f16 v55, v95, v96
	v_pack_b32_f16 v24, v31, v58
	s_waitcnt vmcnt(0)
	ds_write_b128 v21, v[54:57]
	v_pk_fma_f16 v21, v22, 2.0, v97 op_sel_hi:[1,0,1] neg_lo:[0,0,1] neg_hi:[0,0,1]
	v_pk_fma_f16 v22, v52, 2.0, v98 op_sel_hi:[1,0,1] neg_lo:[0,0,1] neg_hi:[0,0,1]
	v_pk_add_f16 v56, v21, v22 neg_lo:[0,1] neg_hi:[0,1]
	v_pk_fma_f16 v54, v21, 2.0, v56 op_sel_hi:[1,0,1] neg_lo:[0,0,1] neg_hi:[0,0,1]
	buffer_load_dword v21, off, s[28:31], 0 offset:68 ; 4-byte Folded Reload
	buffer_load_dword v52, off, s[28:31], 0 offset:72 ; 4-byte Folded Reload
	v_pack_b32_f16 v57, v99, v101
	v_pack_b32_f16 v55, v102, v125
	;; [unrolled: 1-line block ×3, first 2 shown]
	s_waitcnt vmcnt(1)
	ds_write_b128 v21, v[54:57]
	v_pk_fma_f16 v21, v126, 2.0, v23 op_sel_hi:[1,0,1] neg_lo:[0,0,1] neg_hi:[0,0,1]
	s_waitcnt vmcnt(0)
	ds_write_b128 v52, v[21:24]
	s_and_saveexec_b64 s[14:15], s[0:1]
	s_cbranch_execz .LBB0_23
; %bb.22:
	buffer_load_dword v22, off, s[28:31], 0 offset:84 ; 4-byte Folded Reload
	s_mov_b32 s16, 0x5040100
	v_perm_b32 v57, v60, v49, s16
	v_perm_b32 v56, v50, v48, s16
	;; [unrolled: 1-line block ×4, first 2 shown]
	s_waitcnt vmcnt(0)
	ds_write_b128 v22, v[54:57]
.LBB0_23:
	s_or_b64 exec, exec, s[14:15]
	s_waitcnt lgkmcnt(0)
	s_barrier
	ds_read_b32 v76, v70 offset:2688
	ds_read_b32 v75, v70 offset:5376
	;; [unrolled: 1-line block ×14, first 2 shown]
	ds_read_b32 v24, v70
	ds_read_b32 v52, v70 offset:40320
	v_lshrrev_b32_e32 v22, 16, v21
	s_and_saveexec_b64 s[14:15], s[2:3]
	s_cbranch_execz .LBB0_25
; %bb.24:
	ds_read_b32 v21, v70 offset:2048
	ds_read_b32 v53, v70 offset:4736
	;; [unrolled: 1-line block ×16, first 2 shown]
	s_waitcnt lgkmcnt(14)
	v_lshrrev_b32_e32 v22, 16, v21
	v_lshrrev_b32_e32 v59, 16, v53
	s_waitcnt lgkmcnt(12)
	v_lshrrev_b32_e32 v58, 16, v31
	s_waitcnt lgkmcnt(7)
	;; [unrolled: 2-line block ×9, first 2 shown]
	v_lshrrev_b32_e32 v114, 16, v111
	v_lshrrev_b32_e32 v115, 16, v103
	;; [unrolled: 1-line block ×5, first 2 shown]
.LBB0_25:
	s_or_b64 exec, exec, s[14:15]
	s_waitcnt lgkmcnt(14)
	v_lshrrev_b32_e32 v77, 16, v76
	v_mul_f16_sdwa v121, v1, v77 dst_sel:DWORD dst_unused:UNUSED_PAD src0_sel:WORD_1 src1_sel:DWORD
	v_lshrrev_b32_e32 v78, 16, v75
	v_fma_f16 v121, v1, v76, v121
	v_mul_f16_sdwa v76, v1, v76 dst_sel:DWORD dst_unused:UNUSED_PAD src0_sel:WORD_1 src1_sel:DWORD
	v_fma_f16 v76, v1, v77, -v76
	v_mul_f16_sdwa v77, v2, v78 dst_sel:DWORD dst_unused:UNUSED_PAD src0_sel:WORD_1 src1_sel:DWORD
	s_waitcnt lgkmcnt(13)
	v_lshrrev_b32_e32 v79, 16, v74
	v_fma_f16 v77, v2, v75, v77
	v_mul_f16_sdwa v75, v2, v75 dst_sel:DWORD dst_unused:UNUSED_PAD src0_sel:WORD_1 src1_sel:DWORD
	v_fma_f16 v75, v2, v78, -v75
	v_mul_f16_sdwa v78, v3, v79 dst_sel:DWORD dst_unused:UNUSED_PAD src0_sel:WORD_1 src1_sel:DWORD
	s_waitcnt lgkmcnt(12)
	;; [unrolled: 6-line block ×13, first 2 shown]
	v_lshrrev_b32_e32 v102, 16, v52
	v_fma_f16 v99, v26, v54, v99
	v_mul_f16_sdwa v54, v26, v54 dst_sel:DWORD dst_unused:UNUSED_PAD src0_sel:WORD_1 src1_sel:DWORD
	v_fma_f16 v54, v26, v101, -v54
	v_mul_f16_sdwa v101, v27, v102 dst_sel:DWORD dst_unused:UNUSED_PAD src0_sel:WORD_1 src1_sel:DWORD
	v_fma_f16 v101, v27, v52, v101
	v_mul_f16_sdwa v52, v27, v52 dst_sel:DWORD dst_unused:UNUSED_PAD src0_sel:WORD_1 src1_sel:DWORD
	v_fma_f16 v52, v27, v102, -v52
	v_mul_f16_sdwa v102, v1, v59 dst_sel:DWORD dst_unused:UNUSED_PAD src0_sel:WORD_1 src1_sel:DWORD
	v_fma_f16 v102, v1, v53, v102
	v_mul_f16_sdwa v53, v1, v53 dst_sel:DWORD dst_unused:UNUSED_PAD src0_sel:WORD_1 src1_sel:DWORD
	v_fma_f16 v1, v1, v59, -v53
	v_lshrrev_b32_e32 v53, 16, v23
	v_mul_f16_sdwa v59, v2, v53 dst_sel:DWORD dst_unused:UNUSED_PAD src0_sel:WORD_1 src1_sel:DWORD
	v_fma_f16 v59, v2, v23, v59
	v_mul_f16_sdwa v23, v2, v23 dst_sel:DWORD dst_unused:UNUSED_PAD src0_sel:WORD_1 src1_sel:DWORD
	v_fma_f16 v2, v2, v53, -v23
	v_mul_f16_sdwa v23, v3, v58 dst_sel:DWORD dst_unused:UNUSED_PAD src0_sel:WORD_1 src1_sel:DWORD
	v_fma_f16 v23, v3, v31, v23
	v_mul_f16_sdwa v31, v3, v31 dst_sel:DWORD dst_unused:UNUSED_PAD src0_sel:WORD_1 src1_sel:DWORD
	v_fma_f16 v3, v3, v58, -v31
	;; [unrolled: 4-line block ×3, first 2 shown]
	v_mul_f16_sdwa v51, v5, v63 dst_sel:DWORD dst_unused:UNUSED_PAD src0_sel:WORD_1 src1_sel:DWORD
	v_mul_f16_sdwa v53, v5, v61 dst_sel:DWORD dst_unused:UNUSED_PAD src0_sel:WORD_1 src1_sel:DWORD
	v_fma_f16 v51, v5, v61, v51
	v_fma_f16 v5, v5, v63, -v53
	v_mul_f16_sdwa v53, v6, v50 dst_sel:DWORD dst_unused:UNUSED_PAD src0_sel:WORD_1 src1_sel:DWORD
	v_fma_f16 v53, v6, v48, v53
	v_mul_f16_sdwa v48, v6, v48 dst_sel:DWORD dst_unused:UNUSED_PAD src0_sel:WORD_1 src1_sel:DWORD
	v_fma_f16 v6, v6, v50, -v48
	v_mul_f16_sdwa v48, v7, v60 dst_sel:DWORD dst_unused:UNUSED_PAD src0_sel:WORD_1 src1_sel:DWORD
	v_fma_f16 v48, v7, v49, v48
	v_mul_f16_sdwa v49, v7, v49 dst_sel:DWORD dst_unused:UNUSED_PAD src0_sel:WORD_1 src1_sel:DWORD
	v_fma_f16 v7, v7, v60, -v49
	v_mul_f16_sdwa v49, v8, v110 dst_sel:DWORD dst_unused:UNUSED_PAD src0_sel:WORD_1 src1_sel:DWORD
	v_mul_f16_sdwa v50, v8, v106 dst_sel:DWORD dst_unused:UNUSED_PAD src0_sel:WORD_1 src1_sel:DWORD
	v_fma_f16 v49, v8, v106, v49
	v_fma_f16 v8, v8, v110, -v50
	v_mul_f16_sdwa v50, v9, v112 dst_sel:DWORD dst_unused:UNUSED_PAD src0_sel:WORD_1 src1_sel:DWORD
	v_mul_f16_sdwa v58, v9, v107 dst_sel:DWORD dst_unused:UNUSED_PAD src0_sel:WORD_1 src1_sel:DWORD
	v_fma_f16 v50, v9, v107, v50
	;; [unrolled: 4-line block ×5, first 2 shown]
	v_fma_f16 v12, v12, v115, -v62
	v_mul_f16_sdwa v62, v25, v116 dst_sel:DWORD dst_unused:UNUSED_PAD src0_sel:WORD_1 src1_sel:DWORD
	v_mul_f16_sdwa v63, v25, v104 dst_sel:DWORD dst_unused:UNUSED_PAD src0_sel:WORD_1 src1_sel:DWORD
	v_lshrrev_b32_e32 v68, 16, v24
	v_fma_f16 v62, v25, v104, v62
	v_fma_f16 v25, v25, v116, -v63
	v_mul_f16_sdwa v63, v26, v117 dst_sel:DWORD dst_unused:UNUSED_PAD src0_sel:WORD_1 src1_sel:DWORD
	v_mul_f16_sdwa v103, v26, v105 dst_sel:DWORD dst_unused:UNUSED_PAD src0_sel:WORD_1 src1_sel:DWORD
	v_sub_f16_e32 v93, v24, v93
	v_sub_f16_e32 v56, v73, v56
	;; [unrolled: 1-line block ×4, first 2 shown]
	v_fma_f16 v63, v26, v105, v63
	v_fma_f16 v26, v26, v117, -v103
	v_mul_f16_sdwa v103, v27, v118 dst_sel:DWORD dst_unused:UNUSED_PAD src0_sel:WORD_1 src1_sel:DWORD
	v_mul_f16_sdwa v104, v27, v108 dst_sel:DWORD dst_unused:UNUSED_PAD src0_sel:WORD_1 src1_sel:DWORD
	v_sub_f16_e32 v66, v68, v66
	v_sub_f16_e32 v97, v79, v97
	v_fma_f16 v73, v73, 2.0, -v56
	v_sub_f16_e32 v64, v75, v64
	v_sub_f16_e32 v99, v81, v99
	v_fma_f16 v71, v71, 2.0, -v54
	v_sub_f16_e32 v94, v121, v94
	v_sub_f16_e32 v98, v80, v98
	;; [unrolled: 1-line block ×4, first 2 shown]
	v_add_f16_e32 v56, v93, v56
	v_add_f16_e32 v54, v95, v54
	v_fma_f16 v103, v27, v108, v103
	v_fma_f16 v27, v27, v118, -v104
	v_fma_f16 v24, v24, 2.0, -v93
	v_fma_f16 v79, v79, 2.0, -v97
	;; [unrolled: 1-line block ×5, first 2 shown]
	v_sub_f16_e32 v55, v72, v55
	v_fma_f16 v80, v80, 2.0, -v98
	v_fma_f16 v78, v78, 2.0, -v96
	v_sub_f16_e32 v52, v67, v52
	v_fma_f16 v92, v92, 2.0, -v101
	v_sub_f16_e32 v97, v66, v97
	;; [unrolled: 2-line block ×3, first 2 shown]
	v_fma_f16 v95, v95, 2.0, -v54
	s_mov_b32 s14, 0xb9a8
	v_fma_f16 v68, v68, 2.0, -v66
	v_fma_f16 v75, v75, 2.0, -v64
	v_sub_f16_e32 v65, v76, v65
	v_fma_f16 v72, v72, 2.0, -v55
	v_sub_f16_e32 v57, v74, v57
	;; [unrolled: 2-line block ×5, first 2 shown]
	v_add_f16_e32 v55, v94, v55
	v_sub_f16_e32 v92, v78, v92
	v_add_f16_e32 v52, v96, v52
	v_fma_f16 v105, v95, s14, v93
	s_movk_i32 s15, 0x39a8
	v_fma_f16 v24, v24, 2.0, -v79
	v_fma_f16 v77, v77, 2.0, -v81
	;; [unrolled: 1-line block ×3, first 2 shown]
	v_sub_f16_e32 v98, v65, v98
	v_fma_f16 v94, v94, 2.0, -v55
	v_fma_f16 v78, v78, 2.0, -v92
	v_sub_f16_e32 v101, v57, v101
	v_fma_f16 v96, v96, 2.0, -v52
	v_fma_f16 v106, v64, s14, v66
	v_fma_f16 v64, v64, s15, v105
	v_fma_f16 v105, v54, s15, v56
	v_fma_f16 v76, v76, 2.0, -v65
	v_fma_f16 v74, v74, 2.0, -v57
	;; [unrolled: 1-line block ×4, first 2 shown]
	v_sub_f16_e32 v77, v24, v77
	v_fma_f16 v95, v95, s14, v106
	v_fma_f16 v106, v99, s15, v97
	;; [unrolled: 1-line block ×3, first 2 shown]
	v_sub_f16_e32 v78, v104, v78
	v_fma_f16 v105, v96, s14, v94
	v_sub_f16_e32 v71, v75, v71
	v_sub_f16_e32 v67, v74, v67
	v_fma_f16 v24, v24, 2.0, -v77
	v_fma_f16 v54, v54, s14, v106
	v_fma_f16 v104, v104, 2.0, -v78
	v_fma_f16 v106, v57, s14, v65
	v_fma_f16 v57, v57, s15, v105
	v_sub_f16_e32 v73, v68, v73
	v_fma_f16 v75, v75, 2.0, -v71
	v_sub_f16_e32 v72, v76, v72
	v_fma_f16 v74, v74, 2.0, -v67
	v_fma_f16 v93, v93, 2.0, -v64
	v_add_f16_e32 v71, v79, v71
	v_fma_f16 v96, v96, s14, v106
	v_fma_f16 v94, v94, 2.0, -v57
	v_add_f16_e32 v67, v80, v67
	v_fma_f16 v105, v52, s15, v55
	v_sub_f16_e32 v104, v24, v104
	s_mov_b32 s16, 0xbb64
	v_sub_f16_e32 v81, v73, v81
	v_fma_f16 v79, v79, 2.0, -v71
	v_fma_f16 v65, v65, 2.0, -v96
	v_sub_f16_e32 v92, v72, v92
	v_fma_f16 v80, v80, 2.0, -v67
	v_fma_f16 v106, v101, s15, v98
	v_fma_f16 v101, v101, s15, v105
	v_fma_f16 v105, v24, 2.0, -v104
	v_fma_f16 v24, v94, s16, v93
	s_movk_i32 s17, 0x361f
	v_fma_f16 v68, v68, 2.0, -v73
	v_fma_f16 v76, v76, 2.0, -v72
	;; [unrolled: 1-line block ×6, first 2 shown]
	v_fma_f16 v52, v52, s14, v106
	v_fma_f16 v55, v55, 2.0, -v101
	v_fma_f16 v107, v65, s17, v24
	s_mov_b32 s18, 0xb61f
	v_fma_f16 v24, v80, s14, v79
	v_fma_f16 v97, v97, 2.0, -v54
	v_fma_f16 v98, v98, 2.0, -v52
	v_fma_f16 v106, v65, s16, v66
	v_fma_f16 v65, v72, s14, v73
	;; [unrolled: 1-line block ×4, first 2 shown]
	s_movk_i32 s19, 0x3b64
	v_fma_f16 v80, v80, s14, v65
	v_fma_f16 v65, v98, s18, v97
	;; [unrolled: 1-line block ×8, first 2 shown]
	v_fma_f16 v108, v64, 2.0, -v96
	v_fma_f16 v64, v92, s15, v81
	v_fma_f16 v92, v92, s15, v24
	;; [unrolled: 1-line block ×6, first 2 shown]
	v_sub_f16_e32 v52, v59, v58
	v_sub_f16_e32 v24, v21, v49
	;; [unrolled: 1-line block ×6, first 2 shown]
	v_fma_f16 v58, v59, 2.0, -v52
	v_sub_f16_e32 v59, v53, v63
	v_sub_f16_e32 v26, v6, v26
	v_fma_f16 v21, v21, 2.0, -v24
	v_fma_f16 v22, v22, 2.0, -v8
	;; [unrolled: 1-line block ×7, first 2 shown]
	v_sub_f16_e32 v31, v21, v31
	v_sub_f16_e32 v4, v22, v4
	;; [unrolled: 1-line block ×4, first 2 shown]
	v_fma_f16 v21, v21, 2.0, -v31
	v_fma_f16 v22, v22, 2.0, -v4
	v_add_f16_e32 v12, v12, v24
	v_fma_f16 v58, v58, 2.0, -v53
	v_fma_f16 v2, v2, 2.0, -v6
	v_add_f16_e32 v26, v26, v52
	v_fma_f16 v101, v101, s18, v64
	v_sub_f16_e32 v49, v8, v49
	v_fma_f16 v24, v24, 2.0, -v12
	v_sub_f16_e32 v59, v10, v59
	v_fma_f16 v52, v52, 2.0, -v26
	v_sub_f16_e32 v58, v21, v58
	v_sub_f16_e32 v64, v22, v2
	v_fma_f16 v94, v94, s18, v106
	v_sub_f16_e32 v50, v102, v50
	v_sub_f16_e32 v9, v1, v9
	;; [unrolled: 1-line block ×6, first 2 shown]
	v_fma_f16 v8, v8, 2.0, -v49
	v_fma_f16 v10, v10, 2.0, -v59
	;; [unrolled: 1-line block ×4, first 2 shown]
	v_fma_f16 v22, v52, s14, v24
	v_fma_f16 v106, v66, 2.0, -v94
	v_fma_f16 v57, v57, s16, v65
	v_fma_f16 v61, v102, 2.0, -v50
	v_sub_f16_e32 v25, v5, v25
	v_fma_f16 v51, v51, 2.0, -v62
	v_fma_f16 v23, v23, 2.0, -v60
	v_sub_f16_e32 v27, v7, v27
	v_fma_f16 v48, v48, 2.0, -v63
	v_sub_f16_e32 v62, v9, v62
	v_sub_f16_e32 v63, v11, v63
	v_fma_f16 v65, v10, s14, v8
	v_fma_f16 v66, v10, s15, v22
	;; [unrolled: 1-line block ×3, first 2 shown]
	v_fma_f16 v1, v1, 2.0, -v9
	v_fma_f16 v5, v5, 2.0, -v25
	;; [unrolled: 1-line block ×4, first 2 shown]
	v_sub_f16_e32 v51, v61, v51
	v_add_f16_e32 v25, v25, v50
	v_fma_f16 v9, v9, 2.0, -v62
	v_sub_f16_e32 v48, v23, v48
	v_add_f16_e32 v27, v27, v60
	v_fma_f16 v11, v11, 2.0, -v63
	v_fma_f16 v22, v24, 2.0, -v66
	v_fma_f16 v24, v59, s15, v49
	v_fma_f16 v59, v59, s15, v10
	v_sub_f16_e32 v5, v1, v5
	v_fma_f16 v61, v61, 2.0, -v51
	v_fma_f16 v50, v50, 2.0, -v25
	v_sub_f16_e32 v7, v3, v7
	v_fma_f16 v23, v23, 2.0, -v48
	v_fma_f16 v60, v60, 2.0, -v27
	v_add_f16_e32 v102, v6, v31
	v_fma_f16 v103, v26, s14, v24
	v_fma_f16 v26, v12, 2.0, -v59
	v_fma_f16 v12, v11, s14, v9
	v_fma_f16 v1, v1, 2.0, -v5
	v_fma_f16 v3, v3, 2.0, -v7
	v_fma_f16 v52, v52, s14, v65
	v_fma_f16 v6, v31, 2.0, -v102
	v_fma_f16 v31, v49, 2.0, -v103
	v_sub_f16_e32 v49, v61, v23
	v_fma_f16 v10, v60, s14, v50
	v_fma_f16 v111, v60, s14, v12
	v_fma_f16 v8, v8, 2.0, -v52
	v_sub_f16_e32 v65, v1, v3
	v_fma_f16 v3, v61, 2.0, -v49
	v_fma_f16 v110, v11, s15, v10
	v_fma_f16 v11, v9, 2.0, -v111
	v_fma_f16 v9, v27, s15, v25
	v_sub_f16_e32 v53, v4, v53
	v_fma_f16 v1, v1, 2.0, -v65
	v_fma_f16 v12, v50, 2.0, -v110
	v_add_f16_e32 v7, v7, v51
	v_sub_f16_e32 v50, v5, v48
	v_fma_f16 v10, v63, s15, v62
	v_fma_f16 v112, v63, s15, v9
	v_sub_f16_e32 v9, v2, v3
	v_fma_f16 v3, v11, s16, v8
	v_fma_f16 v4, v4, 2.0, -v53
	v_fma_f16 v23, v51, 2.0, -v7
	;; [unrolled: 1-line block ×3, first 2 shown]
	v_fma_f16 v51, v27, s14, v10
	v_sub_f16_e32 v10, v21, v1
	v_fma_f16 v1, v2, 2.0, -v9
	v_fma_f16 v2, v12, s16, v22
	v_fma_f16 v12, v12, s18, v3
	v_fma_f16 v24, v25, 2.0, -v112
	v_fma_f16 v25, v62, 2.0, -v51
	v_fma_f16 v11, v11, s17, v2
	v_fma_f16 v62, v8, 2.0, -v12
	v_fma_f16 v8, v5, s14, v4
	v_sub_f16_e32 v75, v68, v75
	v_sub_f16_e32 v74, v76, v74
	v_fma_f16 v2, v22, 2.0, -v11
	v_fma_f16 v22, v23, s14, v8
	v_fma_f16 v8, v111, s17, v52
	v_fma_f16 v68, v68, 2.0, -v75
	v_fma_f16 v76, v76, 2.0, -v74
	v_fma_f16 v3, v23, s14, v6
	v_fma_f16 v61, v4, 2.0, -v22
	v_fma_f16 v4, v24, s18, v26
	v_fma_f16 v48, v110, s16, v8
	v_sub_f16_e32 v76, v68, v76
	v_fma_f16 v60, v21, 2.0, -v10
	v_fma_f16 v21, v5, s15, v3
	v_fma_f16 v5, v25, s18, v31
	v_fma_f16 v23, v25, s19, v4
	v_add_f16_e32 v25, v58, v65
	v_fma_f16 v65, v52, 2.0, -v48
	v_fma_f16 v8, v7, s15, v102
	v_fma_f16 v52, v50, s15, v53
	v_fma_f16 v68, v68, 2.0, -v76
	v_fma_f16 v93, v93, 2.0, -v107
	v_fma_f16 v4, v26, 2.0, -v23
	v_sub_f16_e32 v26, v64, v49
	v_fma_f16 v49, v50, s15, v8
	v_fma_f16 v50, v7, s14, v52
	v_fma_f16 v79, v79, 2.0, -v72
	v_fma_f16 v73, v73, 2.0, -v80
	;; [unrolled: 1-line block ×4, first 2 shown]
	v_add_f16_e32 v74, v77, v74
	v_sub_f16_e32 v78, v75, v78
	v_fma_f16 v24, v24, s16, v5
	v_fma_f16 v5, v58, 2.0, -v25
	v_fma_f16 v63, v64, 2.0, -v26
	;; [unrolled: 1-line block ×3, first 2 shown]
	v_pack_b32_f16 v53, v105, v68
	v_pack_b32_f16 v58, v93, v106
	v_fma_f16 v77, v77, 2.0, -v74
	v_fma_f16 v75, v75, 2.0, -v78
	v_fma_f16 v95, v95, 2.0, -v57
	s_barrier
	ds_write2_b32 v100, v53, v58 offset1:4
	v_pack_b32_f16 v53, v79, v73
	v_pack_b32_f16 v56, v56, v97
	v_fma_f16 v71, v71, 2.0, -v92
	v_fma_f16 v81, v81, 2.0, -v67
	;; [unrolled: 1-line block ×4, first 2 shown]
	ds_write2_b32 v100, v53, v56 offset0:8 offset1:12
	v_pack_b32_f16 v53, v77, v75
	v_pack_b32_f16 v56, v108, v95
	ds_write2_b32 v100, v53, v56 offset0:16 offset1:20
	v_pack_b32_f16 v53, v71, v81
	v_pack_b32_f16 v54, v99, v54
	;; [unrolled: 3-line block ×3, first 2 shown]
	v_fma_f16 v3, v6, 2.0, -v21
	v_fma_f16 v6, v110, s17, v66
	v_fma_f16 v8, v112, s19, v59
	;; [unrolled: 1-line block ×3, first 2 shown]
	ds_write2_b32 v100, v53, v54 offset0:32 offset1:36
	v_pack_b32_f16 v53, v72, v80
	v_pack_b32_f16 v54, v98, v55
	v_fma_f16 v27, v111, s19, v6
	v_fma_f16 v51, v51, s17, v8
	;; [unrolled: 1-line block ×3, first 2 shown]
	ds_write2_b32 v100, v53, v54 offset0:40 offset1:44
	v_pack_b32_f16 v53, v74, v78
	v_pack_b32_f16 v54, v96, v57
	v_fma_f16 v31, v31, 2.0, -v24
	v_fma_f16 v6, v66, 2.0, -v27
	;; [unrolled: 1-line block ×5, first 2 shown]
	ds_write2_b32 v100, v53, v54 offset0:48 offset1:52
	v_pack_b32_f16 v53, v92, v67
	v_pack_b32_f16 v54, v109, v101
	ds_write2_b32 v100, v53, v54 offset0:56 offset1:60
	s_and_saveexec_b64 s[14:15], s[2:3]
	s_cbranch_execz .LBB0_27
; %bb.26:
	buffer_load_dword v54, off, s[28:31], 0 offset:88 ; 4-byte Folded Reload
	s_movk_i32 s2, 0x3fc0
	v_and_b32_e32 v53, 3, v0
	s_waitcnt vmcnt(0)
	v_and_or_b32 v53, v54, s2, v53
	s_mov_b32 s2, 0x5040100
	v_lshlrev_b32_e32 v53, 2, v53
	v_perm_b32 v54, v60, v1, s2
	v_perm_b32 v55, v62, v2, s2
	;; [unrolled: 1-line block ×4, first 2 shown]
	ds_write2_b32 v53, v54, v55 offset1:4
	v_perm_b32 v54, v61, v3, s2
	v_perm_b32 v55, v31, v4, s2
	ds_write2_b32 v53, v9, v10 offset0:32 offset1:36
	v_perm_b32 v9, v22, v21, s2
	v_perm_b32 v10, v24, v23, s2
	ds_write2_b32 v53, v54, v55 offset0:8 offset1:12
	;; [unrolled: 3-line block ×6, first 2 shown]
	ds_write2_b32 v53, v9, v10 offset0:56 offset1:60
.LBB0_27:
	s_or_b64 exec, exec, s[14:15]
	s_waitcnt lgkmcnt(0)
	s_barrier
	ds_read2st64_b32 v[9:10], v70 offset1:8
	ds_read2st64_b32 v[52:53], v70 offset0:21 offset1:29
	ds_read2st64_b32 v[50:51], v70 offset0:42 offset1:50
	;; [unrolled: 1-line block ×7, first 2 shown]
	s_and_saveexec_b64 s[2:3], s[4:5]
	s_cbranch_execz .LBB0_29
; %bb.28:
	ds_read2st64_b32 v[1:2], v70 offset0:16 offset1:37
	ds_read2st64_b32 v[3:4], v70 offset0:58 offset1:79
	;; [unrolled: 1-line block ×4, first 2 shown]
	s_waitcnt lgkmcnt(3)
	v_lshrrev_b32_e32 v60, 16, v1
	v_lshrrev_b32_e32 v62, 16, v2
	s_waitcnt lgkmcnt(2)
	v_lshrrev_b32_e32 v61, 16, v3
	v_lshrrev_b32_e32 v31, 16, v4
	;; [unrolled: 3-line block ×4, first 2 shown]
.LBB0_29:
	s_or_b64 exec, exec, s[2:3]
	s_waitcnt lgkmcnt(6)
	v_lshrrev_b32_e32 v68, 16, v52
	v_mul_f16_sdwa v95, v13, v68 dst_sel:DWORD dst_unused:UNUSED_PAD src0_sel:WORD_1 src1_sel:DWORD
	s_waitcnt lgkmcnt(5)
	v_lshrrev_b32_e32 v71, 16, v50
	v_fma_f16 v95, v13, v52, v95
	v_mul_f16_sdwa v52, v13, v52 dst_sel:DWORD dst_unused:UNUSED_PAD src0_sel:WORD_1 src1_sel:DWORD
	v_fma_f16 v52, v13, v68, -v52
	v_mul_f16_sdwa v68, v14, v71 dst_sel:DWORD dst_unused:UNUSED_PAD src0_sel:WORD_1 src1_sel:DWORD
	s_waitcnt lgkmcnt(4)
	v_lshrrev_b32_e32 v72, 16, v48
	v_fma_f16 v68, v14, v50, v68
	v_mul_f16_sdwa v50, v14, v50 dst_sel:DWORD dst_unused:UNUSED_PAD src0_sel:WORD_1 src1_sel:DWORD
	v_fma_f16 v50, v14, v71, -v50
	;; [unrolled: 6-line block ×6, first 2 shown]
	v_mul_f16_sdwa v75, v30, v76 dst_sel:DWORD dst_unused:UNUSED_PAD src0_sel:WORD_1 src1_sel:DWORD
	v_lshrrev_b32_e32 v78, 16, v53
	v_fma_f16 v75, v30, v11, v75
	v_mul_f16_sdwa v11, v30, v11 dst_sel:DWORD dst_unused:UNUSED_PAD src0_sel:WORD_1 src1_sel:DWORD
	v_fma_f16 v11, v30, v76, -v11
	v_mul_f16_sdwa v76, v13, v78 dst_sel:DWORD dst_unused:UNUSED_PAD src0_sel:WORD_1 src1_sel:DWORD
	v_lshrrev_b32_e32 v79, 16, v51
	v_fma_f16 v76, v13, v53, v76
	v_mul_f16_sdwa v53, v13, v53 dst_sel:DWORD dst_unused:UNUSED_PAD src0_sel:WORD_1 src1_sel:DWORD
	v_fma_f16 v53, v13, v78, -v53
	;; [unrolled: 5-line block ×6, first 2 shown]
	v_mul_f16_sdwa v92, v29, v93 dst_sel:DWORD dst_unused:UNUSED_PAD src0_sel:WORD_1 src1_sel:DWORD
	v_lshrrev_b32_e32 v94, 16, v12
	v_fma_f16 v92, v29, v22, v92
	v_mul_f16_sdwa v22, v29, v22 dst_sel:DWORD dst_unused:UNUSED_PAD src0_sel:WORD_1 src1_sel:DWORD
	v_lshrrev_b32_e32 v67, 16, v9
	v_fma_f16 v22, v29, v93, -v22
	v_mul_f16_sdwa v93, v30, v94 dst_sel:DWORD dst_unused:UNUSED_PAD src0_sel:WORD_1 src1_sel:DWORD
	v_fma_f16 v93, v30, v12, v93
	v_mul_f16_sdwa v12, v30, v12 dst_sel:DWORD dst_unused:UNUSED_PAD src0_sel:WORD_1 src1_sel:DWORD
	v_sub_f16_e32 v72, v9, v72
	v_sub_f16_e32 v25, v67, v25
	;; [unrolled: 1-line block ×8, first 2 shown]
	v_fma_f16 v12, v30, v94, -v12
	v_fma_f16 v9, v9, 2.0, -v72
	v_fma_f16 v67, v67, 2.0, -v25
	;; [unrolled: 1-line block ×8, first 2 shown]
	v_add_f16_e32 v21, v72, v21
	v_sub_f16_e32 v74, v25, v74
	v_add_f16_e32 v11, v73, v11
	v_sub_f16_e32 v75, v23, v75
	v_sub_f16_e32 v68, v9, v68
	;; [unrolled: 1-line block ×3, first 2 shown]
	v_fma_f16 v72, v72, 2.0, -v21
	v_fma_f16 v25, v25, 2.0, -v74
	v_sub_f16_e32 v71, v94, v71
	v_sub_f16_e32 v48, v52, v48
	v_fma_f16 v73, v73, 2.0, -v11
	v_fma_f16 v23, v23, 2.0, -v75
	s_mov_b32 s14, 0xb9a8
	v_lshrrev_b32_e32 v77, 16, v10
	v_fma_f16 v9, v9, 2.0, -v68
	v_fma_f16 v67, v67, 2.0, -v50
	;; [unrolled: 1-line block ×4, first 2 shown]
	v_fma_f16 v95, v73, s14, v72
	v_fma_f16 v96, v23, s14, v25
	s_movk_i32 s15, 0x39a8
	v_sub_f16_e32 v94, v9, v94
	v_sub_f16_e32 v52, v67, v52
	v_fma_f16 v23, v23, s15, v95
	v_fma_f16 v73, v73, s14, v96
	;; [unrolled: 1-line block ×4, first 2 shown]
	v_sub_f16_e32 v80, v10, v80
	v_sub_f16_e32 v26, v77, v26
	;; [unrolled: 1-line block ×8, first 2 shown]
	v_fma_f16 v9, v9, 2.0, -v94
	v_fma_f16 v67, v67, 2.0, -v52
	;; [unrolled: 1-line block ×4, first 2 shown]
	v_add_f16_e32 v48, v68, v48
	v_sub_f16_e32 v71, v50, v71
	v_fma_f16 v75, v75, s15, v95
	v_fma_f16 v11, v11, s14, v96
	v_fma_f16 v10, v10, 2.0, -v80
	v_fma_f16 v77, v77, 2.0, -v26
	v_fma_f16 v78, v78, 2.0, -v92
	v_fma_f16 v51, v51, 2.0, -v22
	v_fma_f16 v76, v76, 2.0, -v81
	v_fma_f16 v53, v53, 2.0, -v24
	v_fma_f16 v79, v79, 2.0, -v93
	v_fma_f16 v49, v49, 2.0, -v12
	v_add_f16_e32 v22, v80, v22
	v_sub_f16_e32 v92, v26, v92
	v_add_f16_e32 v12, v81, v12
	v_sub_f16_e32 v93, v24, v93
	v_fma_f16 v68, v68, 2.0, -v48
	v_fma_f16 v50, v50, 2.0, -v71
	;; [unrolled: 1-line block ×4, first 2 shown]
	v_sub_f16_e32 v78, v10, v78
	v_sub_f16_e32 v51, v77, v51
	v_fma_f16 v80, v80, 2.0, -v22
	v_fma_f16 v26, v26, 2.0, -v92
	v_sub_f16_e32 v79, v76, v79
	v_sub_f16_e32 v49, v53, v49
	v_fma_f16 v81, v81, 2.0, -v12
	v_fma_f16 v24, v24, 2.0, -v93
	v_pack_b32_f16 v9, v9, v67
	v_pack_b32_f16 v25, v72, v25
	v_fma_f16 v10, v10, 2.0, -v78
	v_fma_f16 v77, v77, 2.0, -v51
	;; [unrolled: 1-line block ×4, first 2 shown]
	v_fma_f16 v95, v81, s14, v80
	v_fma_f16 v96, v24, s14, v26
	s_barrier
	ds_write2st64_b32 v119, v9, v25 offset1:1
	v_pack_b32_f16 v9, v68, v50
	v_pack_b32_f16 v21, v21, v74
	v_sub_f16_e32 v76, v10, v76
	v_sub_f16_e32 v53, v77, v53
	v_fma_f16 v24, v24, s15, v95
	v_fma_f16 v81, v81, s14, v96
	;; [unrolled: 1-line block ×4, first 2 shown]
	ds_write2st64_b32 v119, v9, v21 offset0:2 offset1:3
	v_pack_b32_f16 v9, v94, v52
	v_pack_b32_f16 v21, v23, v73
	v_fma_f16 v10, v10, 2.0, -v76
	v_fma_f16 v77, v77, 2.0, -v53
	;; [unrolled: 1-line block ×4, first 2 shown]
	v_add_f16_e32 v49, v78, v49
	v_sub_f16_e32 v79, v51, v79
	v_fma_f16 v93, v93, s15, v95
	v_fma_f16 v12, v12, s14, v96
	ds_write2st64_b32 v119, v9, v21 offset0:4 offset1:5
	v_pack_b32_f16 v9, v48, v71
	v_pack_b32_f16 v11, v75, v11
	v_fma_f16 v78, v78, 2.0, -v49
	v_fma_f16 v51, v51, 2.0, -v79
	;; [unrolled: 1-line block ×4, first 2 shown]
	ds_write2st64_b32 v119, v9, v11 offset0:6 offset1:7
	v_pack_b32_f16 v9, v10, v77
	v_pack_b32_f16 v10, v80, v26
	ds_write2st64_b32 v120, v9, v10 offset1:1
	v_pack_b32_f16 v9, v78, v51
	v_pack_b32_f16 v10, v22, v92
	ds_write2st64_b32 v120, v9, v10 offset0:2 offset1:3
	v_pack_b32_f16 v9, v76, v53
	v_pack_b32_f16 v10, v24, v81
	v_or_b32_e32 v57, 0x4800, v70
	v_or_b32_e32 v58, 0x7800, v70
	;; [unrolled: 1-line block ×7, first 2 shown]
	ds_write2st64_b32 v120, v9, v10 offset0:4 offset1:5
	v_pack_b32_f16 v9, v49, v79
	v_pack_b32_f16 v10, v93, v12
	ds_write2st64_b32 v120, v9, v10 offset0:6 offset1:7
	s_and_saveexec_b64 s[2:3], s[4:5]
	s_cbranch_execz .LBB0_31
; %bb.30:
	v_mul_f16_sdwa v11, v16, v63 dst_sel:DWORD dst_unused:UNUSED_PAD src0_sel:WORD_1 src1_sel:DWORD
	v_mul_f16_sdwa v23, v15, v31 dst_sel:DWORD dst_unused:UNUSED_PAD src0_sel:WORD_1 src1_sel:DWORD
	v_fma_f16 v11, v16, v5, v11
	v_fma_f16 v23, v15, v4, v23
	v_mul_f16_sdwa v4, v15, v4 dst_sel:DWORD dst_unused:UNUSED_PAD src0_sel:WORD_1 src1_sel:DWORD
	v_mul_f16_sdwa v5, v16, v5 dst_sel:DWORD dst_unused:UNUSED_PAD src0_sel:WORD_1 src1_sel:DWORD
	;; [unrolled: 1-line block ×5, first 2 shown]
	v_fma_f16 v4, v15, v31, -v4
	v_mul_f16_sdwa v15, v13, v62 dst_sel:DWORD dst_unused:UNUSED_PAD src0_sel:WORD_1 src1_sel:DWORD
	v_fma_f16 v5, v16, v63, -v5
	v_mul_f16_sdwa v16, v14, v61 dst_sel:DWORD dst_unused:UNUSED_PAD src0_sel:WORD_1 src1_sel:DWORD
	;; [unrolled: 2-line block ×4, first 2 shown]
	v_fma_f16 v24, v30, v8, v24
	v_mul_f16_sdwa v8, v30, v8 dst_sel:DWORD dst_unused:UNUSED_PAD src0_sel:WORD_1 src1_sel:DWORD
	v_fma_f16 v2, v13, v2, v15
	v_mul_f16_sdwa v13, v28, v65 dst_sel:DWORD dst_unused:UNUSED_PAD src0_sel:WORD_1 src1_sel:DWORD
	;; [unrolled: 2-line block ×3, first 2 shown]
	v_fma_f16 v10, v29, v64, -v10
	v_fma_f16 v22, v28, v65, -v22
	;; [unrolled: 1-line block ×3, first 2 shown]
	v_fma_f16 v6, v28, v6, v13
	v_fma_f16 v7, v29, v7, v14
	v_sub_f16_e32 v10, v9, v10
	v_sub_f16_e32 v11, v1, v11
	;; [unrolled: 1-line block ×8, first 2 shown]
	v_add_f16_e32 v12, v10, v11
	v_sub_f16_e32 v14, v5, v7
	v_fma_f16 v1, v1, 2.0, -v11
	v_fma_f16 v3, v3, 2.0, -v7
	;; [unrolled: 1-line block ×8, first 2 shown]
	v_sub_f16_e32 v3, v1, v3
	v_sub_f16_e32 v4, v7, v4
	;; [unrolled: 1-line block ×4, first 2 shown]
	v_add_f16_e32 v13, v8, v6
	v_add_f16_e32 v8, v3, v4
	v_sub_f16_e32 v23, v9, v10
	v_sub_f16_e32 v25, v22, v24
	v_fma_f16 v21, v3, 2.0, -v8
	v_fma_f16 v24, v9, 2.0, -v23
	;; [unrolled: 1-line block ×4, first 2 shown]
	buffer_load_dword v9, off, s[28:31], 0  ; 4-byte Folded Reload
	v_fma_f16 v15, v13, s15, v12
	v_fma_f16 v15, v25, s15, v15
	;; [unrolled: 1-line block ×3, first 2 shown]
	v_fma_f16 v11, v11, 2.0, -v12
	v_fma_f16 v6, v6, 2.0, -v13
	;; [unrolled: 1-line block ×3, first 2 shown]
	v_fma_f16 v16, v13, s14, v16
	v_fma_f16 v12, v22, 2.0, -v25
	v_fma_f16 v13, v6, s14, v11
	v_fma_f16 v5, v5, 2.0, -v14
	v_fma_f16 v13, v12, s15, v13
	v_fma_f16 v12, v12, s14, v5
	v_fma_f16 v2, v2, 2.0, -v10
	v_fma_f16 v4, v7, 2.0, -v4
	v_fma_f16 v6, v6, s14, v12
	v_sub_f16_e32 v2, v1, v2
	v_sub_f16_e32 v4, v3, v4
	s_movk_i32 s4, 0x2e00
	v_and_b32_e32 v7, 63, v0
	v_fma_f16 v11, v11, 2.0, -v13
	v_fma_f16 v5, v5, 2.0, -v6
	;; [unrolled: 1-line block ×5, first 2 shown]
	v_pack_b32_f16 v1, v1, v3
	v_pack_b32_f16 v3, v11, v5
	s_waitcnt vmcnt(0)
	v_and_or_b32 v7, v9, s4, v7
	v_lshlrev_b32_e32 v7, 2, v7
	ds_write2st64_b32 v7, v1, v3 offset1:1
	v_pack_b32_f16 v1, v21, v24
	v_pack_b32_f16 v3, v26, v28
	ds_write2st64_b32 v7, v1, v3 offset0:2 offset1:3
	v_pack_b32_f16 v1, v2, v4
	v_pack_b32_f16 v2, v13, v6
	ds_write2st64_b32 v7, v1, v2 offset0:4 offset1:5
	;; [unrolled: 3-line block ×3, first 2 shown]
.LBB0_31:
	s_or_b64 exec, exec, s[2:3]
	s_waitcnt lgkmcnt(0)
	s_barrier
	ds_read2st64_b32 v[1:2], v70 offset0:16 offset1:24
	ds_read2st64_b32 v[3:4], v70 offset0:48 offset1:64
	ds_read2st64_b32 v[5:6], v70 offset1:8
	ds_read2st64_b32 v[7:8], v70 offset0:80 offset1:96
	ds_read2st64_b32 v[9:10], v70 offset0:144 offset1:160
	ds_read_b32 v21, v57
	ds_read_b32 v22, v58
	;; [unrolled: 1-line block ×7, first 2 shown]
	s_waitcnt lgkmcnt(6)
	v_lshrrev_b32_e32 v29, 16, v21
	v_lshrrev_b32_e32 v15, 16, v2
	v_mul_f16_sdwa v67, v17, v15 dst_sel:DWORD dst_unused:UNUSED_PAD src0_sel:WORD_1 src1_sel:DWORD
	v_lshrrev_b32_e32 v16, 16, v3
	v_fma_f16 v67, v17, v2, v67
	v_mul_f16_sdwa v2, v17, v2 dst_sel:DWORD dst_unused:UNUSED_PAD src0_sel:WORD_1 src1_sel:DWORD
	v_fma_f16 v2, v17, v15, -v2
	v_mul_f16_sdwa v15, v18, v16 dst_sel:DWORD dst_unused:UNUSED_PAD src0_sel:WORD_1 src1_sel:DWORD
	v_fma_f16 v15, v18, v3, v15
	v_mul_f16_sdwa v3, v18, v3 dst_sel:DWORD dst_unused:UNUSED_PAD src0_sel:WORD_1 src1_sel:DWORD
	v_fma_f16 v3, v18, v16, -v3
	v_mul_f16_sdwa v16, v19, v29 dst_sel:DWORD dst_unused:UNUSED_PAD src0_sel:WORD_1 src1_sel:DWORD
	v_lshrrev_b32_e32 v30, 16, v8
	v_fma_f16 v16, v19, v21, v16
	v_mul_f16_sdwa v21, v19, v21 dst_sel:DWORD dst_unused:UNUSED_PAD src0_sel:WORD_1 src1_sel:DWORD
	ds_read2st64_b32 v[11:12], v70 offset0:32 offset1:40
	v_fma_f16 v21, v19, v29, -v21
	v_mul_f16_sdwa v29, v20, v30 dst_sel:DWORD dst_unused:UNUSED_PAD src0_sel:WORD_1 src1_sel:DWORD
	s_waitcnt lgkmcnt(6)
	v_lshrrev_b32_e32 v31, 16, v22
	v_fma_f16 v29, v20, v8, v29
	v_mul_f16_sdwa v8, v20, v8 dst_sel:DWORD dst_unused:UNUSED_PAD src0_sel:WORD_1 src1_sel:DWORD
	v_fma_f16 v8, v20, v30, -v8
	v_mul_f16_sdwa v30, v32, v31 dst_sel:DWORD dst_unused:UNUSED_PAD src0_sel:WORD_1 src1_sel:DWORD
	v_lshrrev_b32_e32 v48, 16, v9
	v_fma_f16 v30, v32, v22, v30
	v_mul_f16_sdwa v22, v32, v22 dst_sel:DWORD dst_unused:UNUSED_PAD src0_sel:WORD_1 src1_sel:DWORD
	v_fma_f16 v22, v32, v31, -v22
	v_mul_f16_sdwa v31, v33, v48 dst_sel:DWORD dst_unused:UNUSED_PAD src0_sel:WORD_1 src1_sel:DWORD
	s_waitcnt lgkmcnt(0)
	v_lshrrev_b32_e32 v49, 16, v11
	v_fma_f16 v31, v33, v9, v31
	v_mul_f16_sdwa v9, v33, v9 dst_sel:DWORD dst_unused:UNUSED_PAD src0_sel:WORD_1 src1_sel:DWORD
	v_fma_f16 v9, v33, v48, -v9
	v_mul_f16_sdwa v48, v17, v49 dst_sel:DWORD dst_unused:UNUSED_PAD src0_sel:WORD_1 src1_sel:DWORD
	v_lshrrev_b32_e32 v50, 16, v23
	v_fma_f16 v48, v17, v11, v48
	v_mul_f16_sdwa v11, v17, v11 dst_sel:DWORD dst_unused:UNUSED_PAD src0_sel:WORD_1 src1_sel:DWORD
	ds_read2st64_b32 v[13:14], v70 offset0:112 offset1:128
	v_fma_f16 v11, v17, v49, -v11
	v_mul_f16_sdwa v49, v18, v50 dst_sel:DWORD dst_unused:UNUSED_PAD src0_sel:WORD_1 src1_sel:DWORD
	v_lshrrev_b32_e32 v51, 16, v7
	v_fma_f16 v49, v18, v23, v49
	v_mul_f16_sdwa v23, v18, v23 dst_sel:DWORD dst_unused:UNUSED_PAD src0_sel:WORD_1 src1_sel:DWORD
	v_fma_f16 v23, v18, v50, -v23
	v_mul_f16_sdwa v50, v19, v51 dst_sel:DWORD dst_unused:UNUSED_PAD src0_sel:WORD_1 src1_sel:DWORD
	v_lshrrev_b32_e32 v52, 16, v24
	v_fma_f16 v50, v19, v7, v50
	v_mul_f16_sdwa v7, v19, v7 dst_sel:DWORD dst_unused:UNUSED_PAD src0_sel:WORD_1 src1_sel:DWORD
	v_fma_f16 v7, v19, v51, -v7
	v_mul_f16_sdwa v51, v20, v52 dst_sel:DWORD dst_unused:UNUSED_PAD src0_sel:WORD_1 src1_sel:DWORD
	s_waitcnt lgkmcnt(0)
	v_lshrrev_b32_e32 v53, 16, v14
	v_fma_f16 v51, v20, v24, v51
	v_mul_f16_sdwa v24, v20, v24 dst_sel:DWORD dst_unused:UNUSED_PAD src0_sel:WORD_1 src1_sel:DWORD
	v_fma_f16 v24, v20, v52, -v24
	v_mul_f16_sdwa v52, v32, v53 dst_sel:DWORD dst_unused:UNUSED_PAD src0_sel:WORD_1 src1_sel:DWORD
	v_lshrrev_b32_e32 v60, 16, v25
	v_fma_f16 v52, v32, v14, v52
	v_mul_f16_sdwa v14, v32, v14 dst_sel:DWORD dst_unused:UNUSED_PAD src0_sel:WORD_1 src1_sel:DWORD
	v_fma_f16 v14, v32, v53, -v14
	v_mul_f16_sdwa v53, v33, v60 dst_sel:DWORD dst_unused:UNUSED_PAD src0_sel:WORD_1 src1_sel:DWORD
	;; [unrolled: 5-line block ×8, first 2 shown]
	v_fma_f16 v32, v33, v10, v32
	v_mul_f16_sdwa v10, v33, v10 dst_sel:DWORD dst_unused:UNUSED_PAD src0_sel:WORD_1 src1_sel:DWORD
	v_fma_f16 v10, v33, v66, -v10
	v_add_f16_e32 v33, v67, v31
	v_add_f16_e32 v61, v2, v9
	v_sub_f16_e32 v2, v2, v9
	v_add_f16_e32 v9, v15, v30
	v_add_f16_e32 v62, v3, v22
	v_sub_f16_e32 v31, v67, v31
	v_sub_f16_e32 v15, v15, v30
	;; [unrolled: 1-line block ×3, first 2 shown]
	v_add_f16_e32 v22, v16, v29
	v_add_f16_e32 v30, v21, v8
	v_sub_f16_e32 v16, v29, v16
	v_sub_f16_e32 v8, v8, v21
	v_add_f16_e32 v21, v9, v33
	v_add_f16_e32 v29, v62, v61
	v_sub_f16_e32 v63, v9, v33
	v_sub_f16_e32 v64, v62, v61
	;; [unrolled: 1-line block ×6, first 2 shown]
	v_add_f16_e32 v65, v16, v15
	v_add_f16_e32 v66, v8, v3
	v_sub_f16_e32 v67, v16, v15
	v_sub_f16_e32 v68, v8, v3
	;; [unrolled: 1-line block ×4, first 2 shown]
	v_add_f16_e32 v21, v22, v21
	v_add_f16_e32 v22, v30, v29
	v_sub_f16_e32 v16, v31, v16
	v_sub_f16_e32 v8, v2, v8
	v_add_f16_e32 v29, v65, v31
	v_add_f16_e32 v2, v66, v2
	;; [unrolled: 1-line block ×3, first 2 shown]
	v_add_f16_sdwa v5, v5, v22 dst_sel:DWORD dst_unused:UNUSED_PAD src0_sel:WORD_1 src1_sel:DWORD
	v_mul_f16_e32 v31, 0x3a52, v33
	v_mul_f16_e32 v33, 0x3a52, v61
	s_movk_i32 s2, 0x2b26
	v_mul_f16_e32 v61, 0x2b26, v9
	v_mul_f16_e32 v65, 0x2b26, v62
	;; [unrolled: 1-line block ×4, first 2 shown]
	s_mov_b32 s3, 0xbb00
	v_mul_f16_e32 v68, 0xbb00, v15
	v_mul_f16_e32 v71, 0xbb00, v3
	s_mov_b32 s4, 0xbcab
	s_movk_i32 s5, 0x39e0
	s_mov_b32 s14, 0xb9e0
	s_mov_b32 s15, 0xb574
	s_movk_i32 s16, 0x3574
	v_fma_f16 v21, v21, s4, v30
	v_fma_f16 v22, v22, s4, v5
	;; [unrolled: 1-line block ×4, first 2 shown]
	v_fma_f16 v61, v63, s5, -v61
	v_fma_f16 v65, v64, s5, -v65
	v_fma_f16 v31, v63, s14, -v31
	v_fma_f16 v33, v64, s14, -v33
	v_fma_f16 v63, v16, s15, v66
	v_fma_f16 v64, v8, s15, v67
	v_fma_f16 v3, v3, s3, -v67
	v_fma_f16 v16, v16, s16, -v68
	;; [unrolled: 1-line block ×3, first 2 shown]
	s_mov_b32 s17, 0xb70e
	v_fma_f16 v15, v15, s3, -v66
	v_add_f16_e32 v9, v9, v21
	v_add_f16_e32 v62, v62, v22
	;; [unrolled: 1-line block ×6, first 2 shown]
	v_fma_f16 v31, v29, s17, v63
	v_fma_f16 v33, v2, s17, v64
	;; [unrolled: 1-line block ×6, first 2 shown]
	v_add_f16_e32 v8, v33, v9
	v_sub_f16_e32 v29, v62, v31
	v_add_f16_e32 v63, v2, v21
	v_sub_f16_e32 v64, v22, v16
	v_sub_f16_e32 v2, v21, v2
	v_add_f16_e32 v16, v16, v22
	v_sub_f16_e32 v9, v9, v33
	v_add_f16_e32 v21, v31, v62
	v_add_f16_e32 v22, v48, v53
	;; [unrolled: 1-line block ×3, first 2 shown]
	v_sub_f16_e32 v33, v48, v53
	v_sub_f16_e32 v11, v11, v25
	v_add_f16_e32 v25, v49, v52
	v_add_f16_e32 v48, v23, v14
	v_sub_f16_e32 v49, v49, v52
	v_sub_f16_e32 v14, v23, v14
	v_add_f16_e32 v23, v50, v51
	v_add_f16_e32 v52, v7, v24
	;; [unrolled: 4-line block ×3, first 2 shown]
	v_sub_f16_e32 v66, v61, v3
	v_add_f16_e32 v67, v15, v65
	v_add_f16_e32 v3, v3, v61
	v_sub_f16_e32 v15, v65, v15
	v_sub_f16_e32 v53, v25, v22
	;; [unrolled: 1-line block ×7, first 2 shown]
	v_add_f16_e32 v62, v50, v49
	v_add_f16_e32 v65, v7, v14
	v_sub_f16_e32 v68, v50, v49
	v_sub_f16_e32 v71, v7, v14
	;; [unrolled: 1-line block ×4, first 2 shown]
	v_add_f16_e32 v23, v23, v24
	v_add_f16_e32 v24, v52, v51
	v_sub_f16_e32 v50, v33, v50
	v_sub_f16_e32 v7, v11, v7
	v_add_f16_e32 v33, v62, v33
	v_add_f16_e32 v11, v65, v11
	;; [unrolled: 1-line block ×3, first 2 shown]
	v_add_f16_sdwa v6, v6, v24 dst_sel:DWORD dst_unused:UNUSED_PAD src0_sel:WORD_1 src1_sel:DWORD
	v_mul_f16_e32 v22, 0x3a52, v22
	v_mul_f16_e32 v31, 0x3a52, v31
	;; [unrolled: 1-line block ×8, first 2 shown]
	v_fma_f16 v23, v23, s4, v51
	v_fma_f16 v24, v24, s4, v6
	v_fma_f16 v25, v25, s2, v22
	v_fma_f16 v48, v48, s2, v31
	v_fma_f16 v52, v53, s5, -v52
	v_fma_f16 v62, v61, s5, -v62
	;; [unrolled: 1-line block ×4, first 2 shown]
	v_fma_f16 v53, v50, s15, v65
	v_fma_f16 v61, v7, s15, v68
	v_fma_f16 v49, v49, s3, -v65
	v_fma_f16 v50, v50, s16, -v71
	;; [unrolled: 1-line block ×4, first 2 shown]
	v_add_f16_e32 v25, v25, v23
	v_add_f16_e32 v48, v48, v24
	;; [unrolled: 1-line block ×6, first 2 shown]
	v_fma_f16 v24, v33, s17, v53
	v_fma_f16 v31, v11, s17, v61
	;; [unrolled: 1-line block ×6, first 2 shown]
	v_add_f16_e32 v11, v31, v25
	v_add_f16_e32 v53, v7, v22
	v_sub_f16_e32 v61, v23, v33
	v_sub_f16_e32 v7, v22, v7
	v_add_f16_e32 v22, v33, v23
	v_sub_f16_e32 v23, v25, v31
	v_add_f16_e32 v25, v60, v32
	v_add_f16_e32 v31, v12, v10
	v_sub_f16_e32 v10, v12, v10
	v_add_f16_e32 v12, v17, v20
	v_add_f16_e32 v33, v4, v28
	v_sub_f16_e32 v17, v17, v20
	v_sub_f16_e32 v4, v4, v28
	v_add_f16_e32 v20, v18, v26
	v_add_f16_e32 v28, v19, v13
	v_sub_f16_e32 v18, v26, v18
	v_sub_f16_e32 v13, v13, v19
	v_add_f16_e32 v19, v12, v25
	v_add_f16_e32 v26, v33, v31
	v_pack_b32_f16 v3, v3, v15
	v_pack_b32_f16 v2, v2, v16
	v_sub_f16_e32 v50, v48, v24
	v_sub_f16_e32 v65, v52, v14
	v_add_f16_e32 v68, v49, v62
	v_add_f16_e32 v14, v14, v52
	v_sub_f16_e32 v49, v62, v49
	v_add_f16_e32 v24, v24, v48
	v_sub_f16_e32 v32, v60, v32
	v_sub_f16_e32 v48, v12, v25
	;; [unrolled: 1-line block ×7, first 2 shown]
	v_add_f16_e32 v60, v18, v17
	v_add_f16_e32 v62, v13, v4
	v_sub_f16_e32 v71, v18, v17
	v_sub_f16_e32 v72, v13, v4
	v_add_f16_e32 v19, v20, v19
	v_add_f16_e32 v20, v28, v26
	s_barrier
	ds_write2st64_b32 v70, v3, v2 offset0:32 offset1:40
	v_pack_b32_f16 v3, v51, v6
	v_sub_f16_e32 v18, v32, v18
	v_sub_f16_e32 v13, v10, v13
	;; [unrolled: 1-line block ×4, first 2 shown]
	v_add_f16_e32 v26, v60, v32
	v_add_f16_e32 v10, v62, v10
	;; [unrolled: 1-line block ×3, first 2 shown]
	v_add_f16_sdwa v1, v1, v20 dst_sel:DWORD dst_unused:UNUSED_PAD src0_sel:WORD_1 src1_sel:DWORD
	v_mul_f16_e32 v25, 0x3a52, v25
	v_mul_f16_e32 v31, 0x3a52, v31
	v_mul_f16_e32 v32, 0x2b26, v12
	v_mul_f16_e32 v60, 0x2b26, v33
	v_mul_f16_e32 v62, 0x3846, v71
	v_mul_f16_e32 v71, 0x3846, v72
	v_pack_b32_f16 v2, v9, v21
	ds_write_b32 v59, v3
	v_pack_b32_f16 v3, v11, v50
	v_mul_f16_e32 v72, 0xbb00, v17
	v_mul_f16_e32 v73, 0xbb00, v4
	v_fma_f16 v19, v19, s4, v28
	v_fma_f16 v20, v20, s4, v1
	;; [unrolled: 1-line block ×4, first 2 shown]
	v_fma_f16 v32, v48, s5, -v32
	v_fma_f16 v60, v52, s5, -v60
	;; [unrolled: 1-line block ×4, first 2 shown]
	v_fma_f16 v48, v18, s15, v62
	v_fma_f16 v52, v13, s15, v71
	ds_write2st64_b32 v70, v2, v3 offset0:48 offset1:64
	v_pack_b32_f16 v2, v53, v61
	v_pack_b32_f16 v3, v14, v49
	v_fma_f16 v17, v17, s3, -v62
	v_fma_f16 v4, v4, s3, -v71
	;; [unrolled: 1-line block ×4, first 2 shown]
	v_add_f16_e32 v12, v12, v19
	v_add_f16_e32 v33, v33, v20
	;; [unrolled: 1-line block ×6, first 2 shown]
	v_fma_f16 v25, v26, s17, v48
	v_fma_f16 v31, v10, s17, v52
	ds_write_b32 v57, v2
	v_pack_b32_f16 v2, v65, v68
	ds_write_b32 v55, v3
	v_pack_b32_f16 v3, v7, v22
	v_fma_f16 v17, v26, s17, v17
	v_fma_f16 v4, v10, s17, v4
	;; [unrolled: 1-line block ×4, first 2 shown]
	v_add_f16_e32 v13, v31, v12
	v_sub_f16_e32 v26, v33, v25
	ds_write2st64_b32 v70, v2, v3 offset0:80 offset1:96
	v_pack_b32_f16 v2, v23, v24
	v_add_f16_e32 v48, v10, v19
	v_sub_f16_e32 v52, v20, v18
	ds_write_b32 v27, v2
	v_pack_b32_f16 v2, v13, v26
	v_sub_f16_e32 v62, v32, v4
	v_add_f16_e32 v71, v17, v60
	v_sub_f16_e32 v10, v19, v10
	v_add_f16_e32 v18, v18, v20
	v_pack_b32_f16 v1, v28, v1
	ds_write_b32 v58, v2
	v_pack_b32_f16 v2, v48, v52
	v_add_f16_e32 v4, v4, v32
	v_sub_f16_e32 v17, v60, v17
	v_sub_f16_e32 v12, v12, v31
	v_add_f16_e32 v19, v25, v33
	v_pack_b32_f16 v5, v30, v5
	v_pack_b32_f16 v8, v8, v29
	ds_write2st64_b32 v70, v1, v2 offset0:112 offset1:128
	v_pack_b32_f16 v1, v62, v71
	v_pack_b32_f16 v2, v10, v18
	ds_write2st64_b32 v70, v5, v8 offset1:8
	v_pack_b32_f16 v5, v63, v64
	v_pack_b32_f16 v8, v66, v67
	ds_write_b32 v56, v1
	v_pack_b32_f16 v1, v4, v17
	ds_write_b32 v54, v2
	v_pack_b32_f16 v2, v12, v19
	ds_write2st64_b32 v70, v5, v8 offset0:16 offset1:24
	ds_write2st64_b32 v70, v1, v2 offset0:144 offset1:160
	s_waitcnt lgkmcnt(0)
	s_barrier
	ds_read2st64_b32 v[1:2], v70 offset1:8
	ds_read_b32 v16, v59
	ds_read2st64_b32 v[3:4], v70 offset0:112 offset1:128
	ds_read_b32 v17, v56
	ds_read_b32 v18, v55
	;; [unrolled: 1-line block ×5, first 2 shown]
	ds_read2st64_b32 v[5:6], v70 offset0:48 offset1:64
	s_waitcnt lgkmcnt(7)
	v_lshrrev_b32_e32 v22, 16, v16
	v_mul_f16_sdwa v64, v34, v22 dst_sel:DWORD dst_unused:UNUSED_PAD src0_sel:WORD_1 src1_sel:DWORD
	s_waitcnt lgkmcnt(6)
	v_lshrrev_b32_e32 v23, 16, v3
	v_fma_f16 v64, v34, v16, v64
	v_mul_f16_sdwa v16, v34, v16 dst_sel:DWORD dst_unused:UNUSED_PAD src0_sel:WORD_1 src1_sel:DWORD
	ds_read2st64_b32 v[7:8], v70 offset0:16 offset1:24
	ds_read_b32 v24, v57
	v_fma_f16 v16, v34, v22, -v16
	v_mul_f16_sdwa v22, v35, v23 dst_sel:DWORD dst_unused:UNUSED_PAD src0_sel:WORD_1 src1_sel:DWORD
	s_waitcnt lgkmcnt(2)
	v_lshrrev_b32_e32 v26, 16, v6
	v_fma_f16 v22, v35, v3, v22
	v_mul_f16_sdwa v3, v35, v3 dst_sel:DWORD dst_unused:UNUSED_PAD src0_sel:WORD_1 src1_sel:DWORD
	v_fma_f16 v3, v35, v23, -v3
	v_mul_f16_sdwa v23, v36, v26 dst_sel:DWORD dst_unused:UNUSED_PAD src0_sel:WORD_1 src1_sel:DWORD
	v_lshrrev_b32_e32 v28, 16, v21
	v_fma_f16 v23, v36, v6, v23
	v_mul_f16_sdwa v6, v36, v6 dst_sel:DWORD dst_unused:UNUSED_PAD src0_sel:WORD_1 src1_sel:DWORD
	ds_read2st64_b32 v[9:10], v70 offset0:80 offset1:96
	v_fma_f16 v6, v36, v26, -v6
	v_mul_f16_sdwa v26, v37, v28 dst_sel:DWORD dst_unused:UNUSED_PAD src0_sel:WORD_1 src1_sel:DWORD
	s_waitcnt lgkmcnt(1)
	v_lshrrev_b32_e32 v30, 16, v24
	v_fma_f16 v26, v37, v21, v26
	v_mul_f16_sdwa v21, v37, v21 dst_sel:DWORD dst_unused:UNUSED_PAD src0_sel:WORD_1 src1_sel:DWORD
	v_fma_f16 v21, v37, v28, -v21
	v_mul_f16_sdwa v28, v38, v30 dst_sel:DWORD dst_unused:UNUSED_PAD src0_sel:WORD_1 src1_sel:DWORD
	v_lshrrev_b32_e32 v31, 16, v4
	v_fma_f16 v28, v38, v24, v28
	v_mul_f16_sdwa v24, v38, v24 dst_sel:DWORD dst_unused:UNUSED_PAD src0_sel:WORD_1 src1_sel:DWORD
	v_fma_f16 v24, v38, v30, -v24
	v_mul_f16_sdwa v30, v39, v31 dst_sel:DWORD dst_unused:UNUSED_PAD src0_sel:WORD_1 src1_sel:DWORD
	s_waitcnt lgkmcnt(0)
	v_lshrrev_b32_e32 v33, 16, v9
	v_fma_f16 v30, v39, v4, v30
	v_mul_f16_sdwa v4, v39, v4 dst_sel:DWORD dst_unused:UNUSED_PAD src0_sel:WORD_1 src1_sel:DWORD
	v_fma_f16 v4, v39, v31, -v4
	v_mul_f16_sdwa v31, v40, v33 dst_sel:DWORD dst_unused:UNUSED_PAD src0_sel:WORD_1 src1_sel:DWORD
	v_lshrrev_b32_e32 v48, 16, v17
	v_fma_f16 v31, v40, v9, v31
	v_mul_f16_sdwa v9, v40, v9 dst_sel:DWORD dst_unused:UNUSED_PAD src0_sel:WORD_1 src1_sel:DWORD
	ds_read2st64_b32 v[13:14], v70 offset0:144 offset1:160
	v_fma_f16 v9, v40, v33, -v9
	v_mul_f16_sdwa v33, v41, v48 dst_sel:DWORD dst_unused:UNUSED_PAD src0_sel:WORD_1 src1_sel:DWORD
	v_lshrrev_b32_e32 v50, 16, v18
	v_fma_f16 v33, v41, v17, v33
	v_mul_f16_sdwa v17, v41, v17 dst_sel:DWORD dst_unused:UNUSED_PAD src0_sel:WORD_1 src1_sel:DWORD
	v_fma_f16 v17, v41, v48, -v17
	v_mul_f16_sdwa v34, v42, v50 dst_sel:DWORD dst_unused:UNUSED_PAD src0_sel:WORD_1 src1_sel:DWORD
	v_add_f16_e32 v41, v64, v22
	v_lshrrev_b32_e32 v15, 16, v1
	v_fma_f16 v34, v42, v18, v34
	v_mul_f16_sdwa v18, v42, v18 dst_sel:DWORD dst_unused:UNUSED_PAD src0_sel:WORD_1 src1_sel:DWORD
	v_add_f16_e32 v40, v1, v64
	v_fma_f16 v1, v41, -0.5, v1
	v_sub_f16_e32 v41, v16, v3
	s_mov_b32 s2, 0xbaee
	s_movk_i32 s3, 0x3aee
	v_fma_f16 v18, v42, v50, -v18
	v_fma_f16 v42, v41, s2, v1
	v_fma_f16 v1, v41, s3, v1
	v_add_f16_e32 v41, v15, v16
	s_waitcnt lgkmcnt(0)
	v_lshrrev_b32_e32 v51, 16, v13
	v_add_f16_e32 v41, v41, v3
	v_add_f16_e32 v3, v16, v3
	v_mul_f16_sdwa v35, v43, v51 dst_sel:DWORD dst_unused:UNUSED_PAD src0_sel:WORD_1 src1_sel:DWORD
	v_add_f16_e32 v40, v40, v22
	v_fma_f16 v3, v3, -0.5, v15
	v_sub_f16_e32 v15, v64, v22
	v_add_f16_e32 v22, v23, v26
	v_lshrrev_b32_e32 v25, 16, v2
	v_fma_f16 v35, v43, v13, v35
	v_mul_f16_sdwa v13, v43, v13 dst_sel:DWORD dst_unused:UNUSED_PAD src0_sel:WORD_1 src1_sel:DWORD
	v_fma_f16 v16, v15, s3, v3
	v_fma_f16 v3, v15, s2, v3
	v_add_f16_e32 v15, v2, v23
	v_fma_f16 v2, v22, -0.5, v2
	v_sub_f16_e32 v22, v6, v21
	v_fma_f16 v13, v43, v51, -v13
	v_fma_f16 v43, v22, s2, v2
	v_fma_f16 v2, v22, s3, v2
	v_add_f16_e32 v22, v25, v6
	v_add_f16_e32 v6, v6, v21
	;; [unrolled: 1-line block ×3, first 2 shown]
	v_fma_f16 v6, v6, -0.5, v25
	v_sub_f16_e32 v21, v23, v26
	v_add_f16_e32 v25, v28, v30
	v_lshrrev_b32_e32 v29, 16, v7
	v_fma_f16 v23, v21, s3, v6
	v_fma_f16 v6, v21, s2, v6
	v_add_f16_e32 v21, v7, v28
	v_fma_f16 v7, v25, -0.5, v7
	v_sub_f16_e32 v25, v24, v4
	v_add_f16_e32 v15, v15, v26
	v_fma_f16 v26, v25, s2, v7
	v_fma_f16 v7, v25, s3, v7
	v_add_f16_e32 v25, v29, v24
	ds_read2st64_b32 v[11:12], v70 offset0:32 offset1:40
	v_add_f16_e32 v25, v25, v4
	v_add_f16_e32 v4, v24, v4
	v_fma_f16 v4, v4, -0.5, v29
	v_sub_f16_e32 v24, v28, v30
	v_add_f16_e32 v29, v31, v33
	v_lshrrev_b32_e32 v32, 16, v8
	v_fma_f16 v28, v24, s3, v4
	v_fma_f16 v4, v24, s2, v4
	v_add_f16_e32 v24, v8, v31
	v_fma_f16 v8, v29, -0.5, v8
	v_sub_f16_e32 v29, v9, v17
	v_add_f16_e32 v21, v21, v30
	v_fma_f16 v30, v29, s2, v8
	v_fma_f16 v8, v29, s3, v8
	v_add_f16_e32 v29, v32, v9
	v_add_f16_e32 v9, v9, v17
	;; [unrolled: 1-line block ×3, first 2 shown]
	v_fma_f16 v9, v9, -0.5, v32
	v_sub_f16_e32 v17, v31, v33
	v_add_f16_e32 v32, v34, v35
	s_waitcnt lgkmcnt(0)
	v_lshrrev_b32_e32 v49, 16, v11
	v_lshrrev_b32_e32 v53, 16, v10
	v_lshrrev_b32_e32 v60, 16, v19
	v_fma_f16 v31, v17, s3, v9
	v_fma_f16 v9, v17, s2, v9
	v_add_f16_e32 v17, v11, v34
	v_fma_f16 v11, v32, -0.5, v11
	v_sub_f16_e32 v32, v18, v13
	v_mul_f16_sdwa v36, v44, v53 dst_sel:DWORD dst_unused:UNUSED_PAD src0_sel:WORD_1 src1_sel:DWORD
	v_mul_f16_sdwa v37, v45, v60 dst_sel:DWORD dst_unused:UNUSED_PAD src0_sel:WORD_1 src1_sel:DWORD
	v_add_f16_e32 v24, v24, v33
	v_fma_f16 v33, v32, s2, v11
	v_fma_f16 v11, v32, s3, v11
	v_add_f16_e32 v32, v49, v18
	v_fma_f16 v36, v44, v10, v36
	v_mul_f16_sdwa v10, v44, v10 dst_sel:DWORD dst_unused:UNUSED_PAD src0_sel:WORD_1 src1_sel:DWORD
	v_fma_f16 v37, v45, v19, v37
	v_mul_f16_sdwa v19, v45, v19 dst_sel:DWORD dst_unused:UNUSED_PAD src0_sel:WORD_1 src1_sel:DWORD
	v_add_f16_e32 v32, v32, v13
	v_add_f16_e32 v13, v18, v13
	v_lshrrev_b32_e32 v62, 16, v20
	v_lshrrev_b32_e32 v63, 16, v14
	v_fma_f16 v10, v44, v53, -v10
	v_fma_f16 v19, v45, v60, -v19
	v_add_f16_e32 v17, v17, v35
	v_fma_f16 v13, v13, -0.5, v49
	v_sub_f16_e32 v18, v34, v35
	v_add_f16_e32 v35, v36, v37
	v_lshrrev_b32_e32 v52, 16, v12
	v_mul_f16_sdwa v38, v46, v62 dst_sel:DWORD dst_unused:UNUSED_PAD src0_sel:WORD_1 src1_sel:DWORD
	v_mul_f16_sdwa v39, v47, v63 dst_sel:DWORD dst_unused:UNUSED_PAD src0_sel:WORD_1 src1_sel:DWORD
	v_fma_f16 v34, v18, s3, v13
	v_fma_f16 v13, v18, s2, v13
	v_add_f16_e32 v18, v12, v36
	v_fma_f16 v12, v35, -0.5, v12
	v_sub_f16_e32 v35, v10, v19
	v_fma_f16 v38, v46, v20, v38
	v_mul_f16_sdwa v20, v46, v20 dst_sel:DWORD dst_unused:UNUSED_PAD src0_sel:WORD_1 src1_sel:DWORD
	v_fma_f16 v39, v47, v14, v39
	v_mul_f16_sdwa v14, v47, v14 dst_sel:DWORD dst_unused:UNUSED_PAD src0_sel:WORD_1 src1_sel:DWORD
	v_fma_f16 v44, v35, s2, v12
	v_fma_f16 v12, v35, s3, v12
	v_add_f16_e32 v35, v52, v10
	v_add_f16_e32 v10, v10, v19
	v_fma_f16 v20, v46, v62, -v20
	v_fma_f16 v14, v47, v63, -v14
	v_add_f16_e32 v18, v18, v37
	v_add_f16_e32 v35, v35, v19
	v_fma_f16 v10, v10, -0.5, v52
	v_sub_f16_e32 v19, v36, v37
	v_add_f16_e32 v37, v38, v39
	v_pack_b32_f16 v1, v1, v3
	v_pack_b32_f16 v2, v2, v6
	;; [unrolled: 1-line block ×3, first 2 shown]
	v_lshrrev_b32_e32 v61, 16, v5
	v_fma_f16 v36, v19, s3, v10
	v_fma_f16 v10, v19, s2, v10
	v_add_f16_e32 v19, v5, v38
	v_fma_f16 v5, v37, -0.5, v5
	v_sub_f16_e32 v37, v20, v14
	ds_write_b32 v58, v2
	v_pack_b32_f16 v2, v21, v25
	ds_write2st64_b32 v70, v1, v4 offset0:112 offset1:128
	v_pack_b32_f16 v1, v24, v29
	v_fma_f16 v45, v37, s2, v5
	v_fma_f16 v5, v37, s3, v5
	v_add_f16_e32 v37, v61, v20
	v_pack_b32_f16 v6, v26, v28
	ds_write2st64_b32 v70, v2, v1 offset0:16 offset1:24
	v_pack_b32_f16 v2, v8, v9
	v_add_f16_e32 v37, v37, v14
	v_add_f16_e32 v14, v20, v14
	ds_write_b32 v57, v6
	ds_write_b32 v56, v2
	v_pack_b32_f16 v2, v17, v32
	v_pack_b32_f16 v6, v18, v35
	v_fma_f16 v14, v14, -0.5, v61
	v_sub_f16_e32 v20, v38, v39
	v_pack_b32_f16 v1, v30, v31
	ds_write2st64_b32 v70, v2, v6 offset0:32 offset1:40
	v_pack_b32_f16 v2, v44, v36
	v_add_f16_e32 v19, v19, v39
	v_fma_f16 v38, v20, s3, v14
	v_fma_f16 v14, v20, s2, v14
	v_pack_b32_f16 v20, v40, v41
	v_pack_b32_f16 v3, v15, v22
	ds_write2st64_b32 v70, v1, v2 offset0:80 offset1:96
	v_pack_b32_f16 v1, v12, v10
	ds_write2st64_b32 v70, v20, v3 offset1:8
	v_pack_b32_f16 v3, v43, v23
	ds_write_b32 v54, v1
	v_pack_b32_f16 v1, v19, v37
	v_pack_b32_f16 v4, v33, v34
	ds_write2st64_b32 v70, v1, v3 offset0:48 offset1:64
	v_pack_b32_f16 v1, v45, v38
	v_pack_b32_f16 v16, v42, v16
	ds_write_b32 v55, v4
	v_pack_b32_f16 v4, v11, v13
	ds_write_b32 v27, v1
	;; [unrolled: 2-line block ×3, first 2 shown]
	ds_write2st64_b32 v70, v4, v1 offset0:144 offset1:160
	s_waitcnt lgkmcnt(0)
	s_barrier
	ds_read2st64_b32 v[3:4], v70 offset1:8
	buffer_load_dword v5, off, s[28:31], 0 offset:52 ; 4-byte Folded Reload
	buffer_load_dword v6, off, s[28:31], 0 offset:56 ; 4-byte Folded Reload
	s_mov_b32 s14, 0x18618618
	s_mov_b32 s15, 0x3f186186
	s_movk_i32 s19, 0x1ff
	s_waitcnt lgkmcnt(0)
	v_lshrrev_b32_e32 v8, 16, v3
	v_mul_f16_sdwa v1, v91, v8 dst_sel:DWORD dst_unused:UNUSED_PAD src0_sel:WORD_1 src1_sel:DWORD
	v_fma_f16 v1, v91, v3, v1
	v_cvt_f32_f16_e32 v1, v1
	s_movk_i32 s16, 0xffe
	v_mul_f16_sdwa v3, v91, v3 dst_sel:DWORD dst_unused:UNUSED_PAD src0_sel:WORD_1 src1_sel:DWORD
	v_fma_f16 v3, v91, v8, -v3
	v_cvt_f64_f32_e32 v[1:2], v1
	v_cvt_f32_f16_e32 v3, v3
	s_movk_i32 s17, 0x40f
	s_mov_b32 s18, 0x8000
	v_mul_f64 v[1:2], v[1:2], s[14:15]
	buffer_load_dword v19, off, s[28:31], 0 offset:48 ; 4-byte Folded Reload
	v_and_or_b32 v1, v2, s19, v1
	v_cmp_ne_u32_e32 vcc, 0, v1
	v_cndmask_b32_e64 v1, 0, 1, vcc
	v_bfe_u32 v9, v2, 20, 11
	v_sub_u32_e32 v10, 0x3f1, v9
	v_med3_i32 v10, v10, 0, 13
	s_waitcnt vmcnt(2)
	v_mov_b32_e32 v7, v5
	s_waitcnt vmcnt(1)
	v_mad_u64_u32 v[5:6], s[2:3], s10, v7, 0
	v_mad_u64_u32 v[6:7], s[2:3], s11, v7, v[6:7]
	v_lshrrev_b32_e32 v7, 8, v2
	v_and_or_b32 v1, v7, s16, v1
	v_or_b32_e32 v7, 0x1000, v1
	v_lshrrev_b32_e32 v11, v10, v7
	v_lshlrev_b32_e32 v10, v10, v11
	v_cmp_ne_u32_e32 vcc, v10, v7
	v_cndmask_b32_e64 v7, 0, 1, vcc
	v_add_u32_e32 v10, 0xfffffc10, v9
	v_or_b32_e32 v7, v11, v7
	v_lshl_or_b32 v9, v10, 12, v1
	v_cmp_gt_i32_e32 vcc, 1, v10
	v_cndmask_b32_e32 v7, v9, v7, vcc
	v_and_b32_e32 v9, 7, v7
	v_cmp_lt_i32_e32 vcc, 5, v9
	v_cmp_eq_u32_e64 s[2:3], 3, v9
	v_lshrrev_b32_e32 v7, 2, v7
	s_or_b64 vcc, s[2:3], vcc
	v_addc_co_u32_e32 v11, vcc, 0, v7, vcc
	v_cvt_f64_f32_e32 v[7:8], v3
	v_mov_b32_e32 v9, 0x7c00
	v_cmp_gt_i32_e32 vcc, 31, v10
	v_cndmask_b32_e32 v3, v9, v11, vcc
	v_mul_f64 v[7:8], v[7:8], s[14:15]
	v_cmp_ne_u32_e32 vcc, 0, v1
	v_cndmask_b32_e64 v1, 0, 1, vcc
	v_lshl_or_b32 v1, v1, 9, v9
	v_cmp_eq_u32_e32 vcc, s17, v10
	v_cndmask_b32_e32 v1, v3, v1, vcc
	v_lshrrev_b32_e32 v2, 16, v2
	v_and_or_b32 v12, v2, s18, v1
	v_and_or_b32 v1, v8, s19, v7
	v_cmp_ne_u32_e32 vcc, 0, v1
	v_cndmask_b32_e64 v1, 0, 1, vcc
	v_lshrrev_b32_e32 v2, 8, v8
	v_bfe_u32 v3, v8, 20, 11
	v_and_or_b32 v1, v2, s16, v1
	v_sub_u32_e32 v7, 0x3f1, v3
	v_or_b32_e32 v2, 0x1000, v1
	v_med3_i32 v7, v7, 0, 13
	v_lshrrev_b32_e32 v10, v7, v2
	v_lshlrev_b32_e32 v7, v7, v10
	v_cmp_ne_u32_e32 vcc, v7, v2
	v_cndmask_b32_e64 v2, 0, 1, vcc
	v_add_u32_e32 v3, 0xfffffc10, v3
	v_or_b32_e32 v2, v10, v2
	v_lshl_or_b32 v7, v3, 12, v1
	v_cmp_gt_i32_e32 vcc, 1, v3
	v_cndmask_b32_e32 v2, v7, v2, vcc
	v_and_b32_e32 v7, 7, v2
	v_cmp_lt_i32_e32 vcc, 5, v7
	v_cmp_eq_u32_e64 s[2:3], 3, v7
	v_lshrrev_b32_e32 v2, 2, v2
	s_or_b64 vcc, s[2:3], vcc
	v_addc_co_u32_e32 v2, vcc, 0, v2, vcc
	v_cmp_gt_i32_e32 vcc, 31, v3
	v_cndmask_b32_e32 v2, v9, v2, vcc
	v_cmp_ne_u32_e32 vcc, 0, v1
	v_cndmask_b32_e64 v1, 0, 1, vcc
	v_lshl_or_b32 v1, v1, 9, v9
	v_cmp_eq_u32_e32 vcc, s17, v3
	v_mad_u64_u32 v[10:11], s[2:3], s8, v0, 0
	v_cndmask_b32_e32 v13, v2, v1, vcc
	ds_read2st64_b32 v[1:2], v70 offset0:32 offset1:42
	v_mov_b32_e32 v3, v11
	v_lshrrev_b32_e32 v14, 16, v8
	v_mad_u64_u32 v[7:8], s[2:3], s9, v0, v[3:4]
	s_waitcnt lgkmcnt(0)
	v_lshrrev_b32_e32 v0, 16, v2
	v_mul_f16_sdwa v3, v90, v0 dst_sel:DWORD dst_unused:UNUSED_PAD src0_sel:WORD_1 src1_sel:DWORD
	v_fma_f16 v3, v90, v2, v3
	v_cvt_f32_f16_e32 v3, v3
	v_mov_b32_e32 v11, v7
	v_lshlrev_b64 v[5:6], 2, v[5:6]
	v_and_or_b32 v13, v14, s18, v13
	v_cvt_f64_f32_e32 v[7:8], v3
	v_and_b32_e32 v12, 0xffff, v12
	v_lshl_or_b32 v3, v13, 16, v12
	v_mov_b32_e32 v12, s13
	v_mul_f64 v[7:8], v[7:8], s[14:15]
	v_add_co_u32_e32 v13, vcc, s12, v5
	v_addc_co_u32_e32 v12, vcc, v12, v6, vcc
	v_lshlrev_b64 v[5:6], 2, v[10:11]
	v_mul_f16_sdwa v2, v90, v2 dst_sel:DWORD dst_unused:UNUSED_PAD src0_sel:WORD_1 src1_sel:DWORD
	v_add_co_u32_e32 v11, vcc, v13, v5
	v_addc_co_u32_e32 v12, vcc, v12, v6, vcc
	global_store_dword v[11:12], v3, off
	v_and_or_b32 v3, v8, s19, v7
	v_cmp_ne_u32_e32 vcc, 0, v3
	v_cndmask_b32_e64 v3, 0, 1, vcc
	v_lshrrev_b32_e32 v5, 8, v8
	v_bfe_u32 v6, v8, 20, 11
	v_and_or_b32 v5, v5, s16, v3
	v_sub_u32_e32 v7, 0x3f1, v6
	v_or_b32_e32 v3, 0x1000, v5
	v_med3_i32 v7, v7, 0, 13
	v_lshrrev_b32_e32 v10, v7, v3
	v_lshlrev_b32_e32 v7, v7, v10
	v_cmp_ne_u32_e32 vcc, v7, v3
	v_fma_f16 v0, v90, v0, -v2
	v_cndmask_b32_e64 v3, 0, 1, vcc
	v_add_u32_e32 v6, 0xfffffc10, v6
	v_cvt_f32_f16_e32 v0, v0
	v_or_b32_e32 v3, v10, v3
	v_lshl_or_b32 v7, v6, 12, v5
	v_cmp_gt_i32_e32 vcc, 1, v6
	v_cndmask_b32_e32 v3, v7, v3, vcc
	v_and_b32_e32 v7, 7, v3
	v_cmp_lt_i32_e32 vcc, 5, v7
	v_cmp_eq_u32_e64 s[2:3], 3, v7
	v_lshrrev_b32_e32 v7, 2, v3
	v_cvt_f64_f32_e32 v[2:3], v0
	s_or_b64 vcc, s[2:3], vcc
	v_addc_co_u32_e32 v0, vcc, 0, v7, vcc
	v_mul_f64 v[2:3], v[2:3], s[14:15]
	v_cmp_gt_i32_e32 vcc, 31, v6
	v_cndmask_b32_e32 v0, v9, v0, vcc
	v_cmp_ne_u32_e32 vcc, 0, v5
	v_cndmask_b32_e64 v5, 0, 1, vcc
	v_lshl_or_b32 v5, v5, 9, v9
	v_cmp_eq_u32_e32 vcc, s17, v6
	v_cndmask_b32_e32 v0, v0, v5, vcc
	v_and_or_b32 v2, v3, s19, v2
	v_lshrrev_b32_e32 v5, 16, v8
	v_cmp_ne_u32_e32 vcc, 0, v2
	v_and_or_b32 v0, v5, s18, v0
	v_cndmask_b32_e64 v2, 0, 1, vcc
	v_lshrrev_b32_e32 v5, 8, v3
	v_bfe_u32 v6, v3, 20, 11
	v_and_or_b32 v2, v5, s16, v2
	v_sub_u32_e32 v7, 0x3f1, v6
	v_or_b32_e32 v5, 0x1000, v2
	v_med3_i32 v7, v7, 0, 13
	v_lshrrev_b32_e32 v8, v7, v5
	v_lshlrev_b32_e32 v7, v7, v8
	v_cmp_ne_u32_e32 vcc, v7, v5
	v_cndmask_b32_e64 v5, 0, 1, vcc
	v_add_u32_e32 v7, 0xfffffc10, v6
	v_or_b32_e32 v5, v8, v5
	v_lshl_or_b32 v6, v7, 12, v2
	v_cmp_gt_i32_e32 vcc, 1, v7
	v_cndmask_b32_e32 v5, v6, v5, vcc
	v_and_b32_e32 v6, 7, v5
	v_cmp_lt_i32_e32 vcc, 5, v6
	v_cmp_eq_u32_e64 s[2:3], 3, v6
	v_lshrrev_b32_e32 v5, 2, v5
	s_or_b64 vcc, s[2:3], vcc
	v_addc_co_u32_e32 v5, vcc, 0, v5, vcc
	v_cmp_gt_i32_e32 vcc, 31, v7
	v_cndmask_b32_e32 v8, v9, v5, vcc
	ds_read2st64_b32 v[5:6], v70 offset0:84 offset1:92
	v_cmp_ne_u32_e32 vcc, 0, v2
	v_cndmask_b32_e64 v2, 0, 1, vcc
	v_lshl_or_b32 v2, v2, 9, v9
	v_cmp_eq_u32_e32 vcc, s17, v7
	v_cndmask_b32_e32 v2, v8, v2, vcc
	v_lshrrev_b32_e32 v3, 16, v3
	s_waitcnt lgkmcnt(0)
	v_lshrrev_b32_e32 v13, 16, v5
	v_and_or_b32 v7, v3, s18, v2
	v_mul_f16_sdwa v2, v89, v13 dst_sel:DWORD dst_unused:UNUSED_PAD src0_sel:WORD_1 src1_sel:DWORD
	v_fma_f16 v2, v89, v5, v2
	v_cvt_f32_f16_e32 v2, v2
	s_mul_i32 s2, s9, 0xa80
	s_mul_hi_u32 s3, s8, 0xa80
	s_add_i32 s3, s3, s2
	v_cvt_f64_f32_e32 v[2:3], v2
	s_mul_i32 s2, s8, 0xa80
	v_and_b32_e32 v0, 0xffff, v0
	s_lshl_b64 s[10:11], s[2:3], 2
	v_mul_f64 v[2:3], v[2:3], s[14:15]
	v_lshl_or_b32 v0, v7, 16, v0
	v_mov_b32_e32 v10, s11
	v_add_co_u32_e32 v7, vcc, s10, v11
	v_addc_co_u32_e32 v8, vcc, v12, v10, vcc
	global_store_dword v[7:8], v0, off
	v_and_or_b32 v0, v3, s19, v2
	v_cmp_ne_u32_e32 vcc, 0, v0
	v_cndmask_b32_e64 v0, 0, 1, vcc
	v_lshrrev_b32_e32 v2, 8, v3
	v_bfe_u32 v11, v3, 20, 11
	v_and_or_b32 v0, v2, s16, v0
	v_sub_u32_e32 v12, 0x3f1, v11
	v_or_b32_e32 v2, 0x1000, v0
	v_med3_i32 v12, v12, 0, 13
	v_lshrrev_b32_e32 v14, v12, v2
	v_lshlrev_b32_e32 v12, v12, v14
	v_cmp_ne_u32_e32 vcc, v12, v2
	v_mul_f16_sdwa v5, v89, v5 dst_sel:DWORD dst_unused:UNUSED_PAD src0_sel:WORD_1 src1_sel:DWORD
	v_cndmask_b32_e64 v2, 0, 1, vcc
	v_fma_f16 v5, v89, v13, -v5
	v_or_b32_e32 v2, v14, v2
	v_add_u32_e32 v14, 0xfffffc10, v11
	v_cvt_f32_f16_e32 v5, v5
	v_lshl_or_b32 v11, v14, 12, v0
	v_cmp_gt_i32_e32 vcc, 1, v14
	v_cndmask_b32_e32 v2, v11, v2, vcc
	v_and_b32_e32 v11, 7, v2
	v_cmp_lt_i32_e32 vcc, 5, v11
	v_cmp_eq_u32_e64 s[2:3], 3, v11
	v_cvt_f64_f32_e32 v[11:12], v5
	v_lshrrev_b32_e32 v2, 2, v2
	s_or_b64 vcc, s[2:3], vcc
	v_addc_co_u32_e32 v2, vcc, 0, v2, vcc
	v_mul_f64 v[11:12], v[11:12], s[14:15]
	v_cmp_gt_i32_e32 vcc, 31, v14
	v_cndmask_b32_e32 v2, v9, v2, vcc
	v_cmp_ne_u32_e32 vcc, 0, v0
	v_cndmask_b32_e64 v0, 0, 1, vcc
	v_lshl_or_b32 v0, v0, 9, v9
	v_cmp_eq_u32_e32 vcc, s17, v14
	v_cndmask_b32_e32 v0, v2, v0, vcc
	v_lshrrev_b32_e32 v2, 16, v3
	v_and_or_b32 v0, v2, s18, v0
	v_and_or_b32 v2, v12, s19, v11
	v_cmp_ne_u32_e32 vcc, 0, v2
	v_cndmask_b32_e64 v2, 0, 1, vcc
	v_lshrrev_b32_e32 v3, 8, v12
	v_and_or_b32 v5, v3, s16, v2
	v_bfe_u32 v3, v12, 20, 11
	v_sub_u32_e32 v11, 0x3f1, v3
	v_or_b32_e32 v2, 0x1000, v5
	v_med3_i32 v11, v11, 0, 13
	v_lshrrev_b32_e32 v13, v11, v2
	v_lshlrev_b32_e32 v11, v11, v13
	v_cmp_ne_u32_e32 vcc, v11, v2
	v_cndmask_b32_e64 v2, 0, 1, vcc
	v_add_u32_e32 v11, 0xfffffc10, v3
	v_or_b32_e32 v2, v13, v2
	v_lshl_or_b32 v3, v11, 12, v5
	v_cmp_gt_i32_e32 vcc, 1, v11
	v_cndmask_b32_e32 v2, v3, v2, vcc
	v_and_b32_e32 v3, 7, v2
	v_cmp_lt_i32_e32 vcc, 5, v3
	v_cmp_eq_u32_e64 s[2:3], 3, v3
	v_lshrrev_b32_e32 v13, 2, v2
	ds_read2st64_b32 v[2:3], v70 offset0:116 offset1:126
	s_or_b64 vcc, s[2:3], vcc
	v_addc_co_u32_e32 v13, vcc, 0, v13, vcc
	v_cmp_gt_i32_e32 vcc, 31, v11
	s_waitcnt lgkmcnt(0)
	v_lshrrev_b32_e32 v16, 16, v3
	v_cndmask_b32_e32 v15, v9, v13, vcc
	v_mul_f16_sdwa v13, v88, v16 dst_sel:DWORD dst_unused:UNUSED_PAD src0_sel:WORD_1 src1_sel:DWORD
	v_fma_f16 v13, v88, v3, v13
	v_cvt_f32_f16_e32 v13, v13
	v_cmp_ne_u32_e32 vcc, 0, v5
	v_cndmask_b32_e64 v5, 0, 1, vcc
	v_lshl_or_b32 v5, v5, 9, v9
	v_cvt_f64_f32_e32 v[13:14], v13
	v_cmp_eq_u32_e32 vcc, s17, v11
	v_cndmask_b32_e32 v5, v15, v5, vcc
	v_lshrrev_b32_e32 v11, 16, v12
	v_and_or_b32 v5, v11, s18, v5
	v_mul_f64 v[11:12], v[13:14], s[14:15]
	v_and_b32_e32 v0, 0xffff, v0
	v_add_co_u32_e32 v7, vcc, s10, v7
	v_lshl_or_b32 v0, v5, 16, v0
	v_addc_co_u32_e32 v8, vcc, v8, v10, vcc
	global_store_dword v[7:8], v0, off
	v_and_or_b32 v0, v12, s19, v11
	v_cmp_ne_u32_e32 vcc, 0, v0
	v_cndmask_b32_e64 v0, 0, 1, vcc
	v_lshrrev_b32_e32 v5, 8, v12
	v_bfe_u32 v11, v12, 20, 11
	v_and_or_b32 v0, v5, s16, v0
	v_sub_u32_e32 v13, 0x3f1, v11
	v_or_b32_e32 v5, 0x1000, v0
	v_med3_i32 v13, v13, 0, 13
	v_lshrrev_b32_e32 v14, v13, v5
	v_lshlrev_b32_e32 v13, v13, v14
	v_mul_f16_sdwa v3, v88, v3 dst_sel:DWORD dst_unused:UNUSED_PAD src0_sel:WORD_1 src1_sel:DWORD
	v_cmp_ne_u32_e32 vcc, v13, v5
	v_fma_f16 v3, v88, v16, -v3
	v_cndmask_b32_e64 v5, 0, 1, vcc
	v_add_u32_e32 v11, 0xfffffc10, v11
	v_cvt_f32_f16_e32 v3, v3
	v_or_b32_e32 v5, v14, v5
	v_lshl_or_b32 v13, v11, 12, v0
	v_cmp_gt_i32_e32 vcc, 1, v11
	v_cndmask_b32_e32 v5, v13, v5, vcc
	v_and_b32_e32 v13, 7, v5
	v_cmp_lt_i32_e32 vcc, 5, v13
	v_cmp_eq_u32_e64 s[2:3], 3, v13
	v_cvt_f64_f32_e32 v[13:14], v3
	v_lshrrev_b32_e32 v5, 2, v5
	s_or_b64 vcc, s[2:3], vcc
	v_addc_co_u32_e32 v3, vcc, 0, v5, vcc
	v_mul_f64 v[13:14], v[13:14], s[14:15]
	v_cmp_gt_i32_e32 vcc, 31, v11
	v_cndmask_b32_e32 v3, v9, v3, vcc
	v_cmp_ne_u32_e32 vcc, 0, v0
	v_cndmask_b32_e64 v0, 0, 1, vcc
	v_lshl_or_b32 v0, v0, 9, v9
	v_cmp_eq_u32_e32 vcc, s17, v11
	v_cndmask_b32_e32 v0, v3, v0, vcc
	v_lshrrev_b32_e32 v3, 16, v12
	v_and_or_b32 v0, v3, s18, v0
	v_and_or_b32 v3, v14, s19, v13
	v_cmp_ne_u32_e32 vcc, 0, v3
	v_cndmask_b32_e64 v3, 0, 1, vcc
	v_lshrrev_b32_e32 v5, 8, v14
	v_bfe_u32 v11, v14, 20, 11
	v_and_or_b32 v3, v5, s16, v3
	v_sub_u32_e32 v12, 0x3f1, v11
	v_or_b32_e32 v5, 0x1000, v3
	v_med3_i32 v12, v12, 0, 13
	v_lshrrev_b32_e32 v13, v12, v5
	v_lshlrev_b32_e32 v12, v12, v13
	v_cmp_ne_u32_e32 vcc, v12, v5
	v_cndmask_b32_e64 v5, 0, 1, vcc
	v_or_b32_e32 v5, v13, v5
	v_add_u32_e32 v13, 0xfffffc10, v11
	v_lshl_or_b32 v11, v13, 12, v3
	v_cmp_gt_i32_e32 vcc, 1, v13
	v_cndmask_b32_e32 v5, v11, v5, vcc
	v_and_b32_e32 v11, 7, v5
	v_lshrrev_b32_e32 v15, 16, v4
	v_cmp_lt_i32_e32 vcc, 5, v11
	v_cmp_eq_u32_e64 s[2:3], 3, v11
	v_mul_f16_sdwa v11, v87, v15 dst_sel:DWORD dst_unused:UNUSED_PAD src0_sel:WORD_1 src1_sel:DWORD
	v_fma_f16 v11, v87, v4, v11
	v_cvt_f32_f16_e32 v11, v11
	v_lshrrev_b32_e32 v5, 2, v5
	s_or_b64 vcc, s[2:3], vcc
	v_addc_co_u32_e32 v5, vcc, 0, v5, vcc
	v_cvt_f64_f32_e32 v[11:12], v11
	v_cmp_gt_i32_e32 vcc, 31, v13
	v_cndmask_b32_e32 v5, v9, v5, vcc
	v_cmp_ne_u32_e32 vcc, 0, v3
	v_mul_f64 v[11:12], v[11:12], s[14:15]
	v_cndmask_b32_e64 v3, 0, 1, vcc
	v_lshl_or_b32 v3, v3, 9, v9
	v_cmp_eq_u32_e32 vcc, s17, v13
	v_cndmask_b32_e32 v3, v5, v3, vcc
	v_lshrrev_b32_e32 v5, 16, v14
	v_and_or_b32 v3, v5, s18, v3
	v_and_b32_e32 v0, 0xffff, v0
	v_add_co_u32_e32 v7, vcc, s10, v7
	v_lshl_or_b32 v0, v3, 16, v0
	v_addc_co_u32_e32 v8, vcc, v8, v10, vcc
	global_store_dword v[7:8], v0, off
	v_and_or_b32 v0, v12, s19, v11
	v_cmp_ne_u32_e32 vcc, 0, v0
	v_cndmask_b32_e64 v0, 0, 1, vcc
	v_lshrrev_b32_e32 v3, 8, v12
	v_bfe_u32 v5, v12, 20, 11
	v_and_or_b32 v0, v3, s16, v0
	v_sub_u32_e32 v11, 0x3f1, v5
	v_or_b32_e32 v3, 0x1000, v0
	v_med3_i32 v11, v11, 0, 13
	v_lshrrev_b32_e32 v13, v11, v3
	v_lshlrev_b32_e32 v11, v11, v13
	v_mul_f16_sdwa v4, v87, v4 dst_sel:DWORD dst_unused:UNUSED_PAD src0_sel:WORD_1 src1_sel:DWORD
	v_cmp_ne_u32_e32 vcc, v11, v3
	v_fma_f16 v4, v87, v15, -v4
	v_cndmask_b32_e64 v3, 0, 1, vcc
	v_add_u32_e32 v11, 0xfffffc10, v5
	v_cvt_f32_f16_e32 v4, v4
	v_or_b32_e32 v3, v13, v3
	v_lshl_or_b32 v5, v11, 12, v0
	v_cmp_gt_i32_e32 vcc, 1, v11
	v_cndmask_b32_e32 v3, v5, v3, vcc
	v_and_b32_e32 v5, 7, v3
	v_cmp_lt_i32_e32 vcc, 5, v5
	v_cmp_eq_u32_e64 s[2:3], 3, v5
	v_lshrrev_b32_e32 v5, 2, v3
	v_cvt_f64_f32_e32 v[3:4], v4
	s_or_b64 vcc, s[2:3], vcc
	v_addc_co_u32_e32 v5, vcc, 0, v5, vcc
	v_cmp_gt_i32_e32 vcc, 31, v11
	v_cndmask_b32_e32 v13, v9, v5, vcc
	v_mul_f64 v[4:5], v[3:4], s[14:15]
	v_cmp_ne_u32_e32 vcc, 0, v0
	v_cndmask_b32_e64 v0, 0, 1, vcc
	v_lshl_or_b32 v0, v0, 9, v9
	v_cmp_eq_u32_e32 vcc, s17, v11
	v_cndmask_b32_e32 v0, v13, v0, vcc
	v_lshrrev_b32_e32 v3, 16, v12
	v_and_or_b32 v0, v3, s18, v0
	v_and_or_b32 v3, v5, s19, v4
	v_cmp_ne_u32_e32 vcc, 0, v3
	v_cndmask_b32_e64 v3, 0, 1, vcc
	v_lshrrev_b32_e32 v4, 8, v5
	v_bfe_u32 v11, v5, 20, 11
	v_and_or_b32 v3, v4, s16, v3
	v_sub_u32_e32 v12, 0x3f1, v11
	v_or_b32_e32 v4, 0x1000, v3
	v_med3_i32 v12, v12, 0, 13
	v_lshrrev_b32_e32 v13, v12, v4
	v_lshlrev_b32_e32 v12, v12, v13
	v_cmp_ne_u32_e32 vcc, v12, v4
	v_cndmask_b32_e64 v4, 0, 1, vcc
	v_add_u32_e32 v11, 0xfffffc10, v11
	v_or_b32_e32 v4, v13, v4
	v_lshl_or_b32 v12, v11, 12, v3
	v_cmp_gt_i32_e32 vcc, 1, v11
	v_cndmask_b32_e32 v4, v12, v4, vcc
	v_and_b32_e32 v12, 7, v4
	v_cmp_lt_i32_e32 vcc, 5, v12
	v_cmp_eq_u32_e64 s[2:3], 3, v12
	v_lshrrev_b32_e32 v4, 2, v4
	s_or_b64 vcc, s[2:3], vcc
	v_addc_co_u32_e32 v4, vcc, 0, v4, vcc
	v_cmp_gt_i32_e32 vcc, 31, v11
	v_cndmask_b32_e32 v12, v9, v4, vcc
	v_cmp_ne_u32_e32 vcc, 0, v3
	v_cndmask_b32_e64 v3, 0, 1, vcc
	v_lshl_or_b32 v13, v3, 9, v9
	ds_read2st64_b32 v[3:4], v70 offset0:50 offset1:58
	v_cmp_eq_u32_e32 vcc, s17, v11
	v_cndmask_b32_e32 v11, v12, v13, vcc
	v_lshrrev_b32_e32 v5, 16, v5
	v_and_or_b32 v5, v5, s18, v11
	s_waitcnt lgkmcnt(0)
	v_lshrrev_b32_e32 v13, 16, v3
	v_mul_f16_sdwa v11, v85, v13 dst_sel:DWORD dst_unused:UNUSED_PAD src0_sel:WORD_1 src1_sel:DWORD
	v_fma_f16 v11, v85, v3, v11
	v_cvt_f32_f16_e32 v11, v11
	s_mul_hi_u32 s3, s8, 0xffffe280
	s_mul_i32 s2, s9, 0xffffe280
	s_sub_i32 s3, s3, s8
	v_cvt_f64_f32_e32 v[11:12], v11
	s_add_i32 s3, s3, s2
	s_mul_i32 s2, s8, 0xffffe280
	v_and_b32_e32 v0, 0xffff, v0
	v_mul_f64 v[11:12], v[11:12], s[14:15]
	s_lshl_b64 s[4:5], s[2:3], 2
	v_lshl_or_b32 v5, v5, 16, v0
	v_mov_b32_e32 v0, s5
	v_add_co_u32_e32 v7, vcc, s4, v7
	v_addc_co_u32_e32 v8, vcc, v8, v0, vcc
	global_store_dword v[7:8], v5, off
	v_and_or_b32 v5, v12, s19, v11
	v_cmp_ne_u32_e32 vcc, 0, v5
	v_cndmask_b32_e64 v5, 0, 1, vcc
	v_lshrrev_b32_e32 v11, 8, v12
	v_bfe_u32 v14, v12, 20, 11
	v_and_or_b32 v5, v11, s16, v5
	v_sub_u32_e32 v15, 0x3f1, v14
	v_or_b32_e32 v11, 0x1000, v5
	v_med3_i32 v15, v15, 0, 13
	v_lshrrev_b32_e32 v16, v15, v11
	v_lshlrev_b32_e32 v15, v15, v16
	v_mul_f16_sdwa v3, v85, v3 dst_sel:DWORD dst_unused:UNUSED_PAD src0_sel:WORD_1 src1_sel:DWORD
	v_cmp_ne_u32_e32 vcc, v15, v11
	v_fma_f16 v3, v85, v13, -v3
	v_cndmask_b32_e64 v11, 0, 1, vcc
	v_add_u32_e32 v15, 0xfffffc10, v14
	v_cvt_f32_f16_e32 v3, v3
	v_or_b32_e32 v11, v16, v11
	v_lshl_or_b32 v14, v15, 12, v5
	v_cmp_gt_i32_e32 vcc, 1, v15
	v_cndmask_b32_e32 v11, v14, v11, vcc
	v_and_b32_e32 v14, 7, v11
	v_cmp_lt_i32_e32 vcc, 5, v14
	v_cmp_eq_u32_e64 s[2:3], 3, v14
	v_cvt_f64_f32_e32 v[13:14], v3
	v_lshrrev_b32_e32 v11, 2, v11
	s_or_b64 vcc, s[2:3], vcc
	v_addc_co_u32_e32 v3, vcc, 0, v11, vcc
	v_mul_f64 v[13:14], v[13:14], s[14:15]
	v_cmp_gt_i32_e32 vcc, 31, v15
	v_cndmask_b32_e32 v3, v9, v3, vcc
	v_cmp_ne_u32_e32 vcc, 0, v5
	v_cndmask_b32_e64 v5, 0, 1, vcc
	v_lshl_or_b32 v5, v5, 9, v9
	v_cmp_eq_u32_e32 vcc, s17, v15
	v_cndmask_b32_e32 v3, v3, v5, vcc
	v_lshrrev_b32_e32 v5, 16, v12
	v_and_or_b32 v3, v5, s18, v3
	v_and_or_b32 v5, v14, s19, v13
	v_cmp_ne_u32_e32 vcc, 0, v5
	v_cndmask_b32_e64 v5, 0, 1, vcc
	v_lshrrev_b32_e32 v11, 8, v14
	v_bfe_u32 v12, v14, 20, 11
	v_and_or_b32 v5, v11, s16, v5
	v_sub_u32_e32 v13, 0x3f1, v12
	v_or_b32_e32 v11, 0x1000, v5
	v_med3_i32 v13, v13, 0, 13
	v_lshrrev_b32_e32 v15, v13, v11
	v_lshlrev_b32_e32 v13, v13, v15
	v_cmp_ne_u32_e32 vcc, v13, v11
	v_cndmask_b32_e64 v11, 0, 1, vcc
	v_add_u32_e32 v13, 0xfffffc10, v12
	v_or_b32_e32 v11, v15, v11
	v_lshl_or_b32 v12, v13, 12, v5
	v_cmp_gt_i32_e32 vcc, 1, v13
	v_cndmask_b32_e32 v11, v12, v11, vcc
	v_and_b32_e32 v12, 7, v11
	v_cmp_lt_i32_e32 vcc, 5, v12
	v_cmp_eq_u32_e64 s[2:3], 3, v12
	v_lshrrev_b32_e32 v11, 2, v11
	s_or_b64 vcc, s[2:3], vcc
	v_addc_co_u32_e32 v11, vcc, 0, v11, vcc
	v_cmp_gt_i32_e32 vcc, 31, v13
	v_lshrrev_b32_e32 v16, 16, v6
	v_cndmask_b32_e32 v15, v9, v11, vcc
	v_mul_f16_sdwa v11, v83, v16 dst_sel:DWORD dst_unused:UNUSED_PAD src0_sel:WORD_1 src1_sel:DWORD
	v_fma_f16 v11, v83, v6, v11
	v_cvt_f32_f16_e32 v11, v11
	v_cmp_ne_u32_e32 vcc, 0, v5
	v_cndmask_b32_e64 v5, 0, 1, vcc
	v_lshl_or_b32 v5, v5, 9, v9
	v_cvt_f64_f32_e32 v[11:12], v11
	v_cmp_eq_u32_e32 vcc, s17, v13
	v_cndmask_b32_e32 v5, v15, v5, vcc
	v_lshrrev_b32_e32 v13, 16, v14
	v_mul_f64 v[11:12], v[11:12], s[14:15]
	v_and_or_b32 v5, v13, s18, v5
	v_and_b32_e32 v3, 0xffff, v3
	v_add_co_u32_e32 v7, vcc, s10, v7
	v_lshl_or_b32 v3, v5, 16, v3
	v_addc_co_u32_e32 v8, vcc, v8, v10, vcc
	global_store_dword v[7:8], v3, off
	v_and_or_b32 v3, v12, s19, v11
	v_cmp_ne_u32_e32 vcc, 0, v3
	v_cndmask_b32_e64 v3, 0, 1, vcc
	v_lshrrev_b32_e32 v5, 8, v12
	v_bfe_u32 v11, v12, 20, 11
	v_and_or_b32 v3, v5, s16, v3
	v_sub_u32_e32 v13, 0x3f1, v11
	v_or_b32_e32 v5, 0x1000, v3
	v_med3_i32 v13, v13, 0, 13
	v_lshrrev_b32_e32 v14, v13, v5
	v_lshlrev_b32_e32 v13, v13, v14
	v_mul_f16_sdwa v6, v83, v6 dst_sel:DWORD dst_unused:UNUSED_PAD src0_sel:WORD_1 src1_sel:DWORD
	v_cmp_ne_u32_e32 vcc, v13, v5
	v_fma_f16 v6, v83, v16, -v6
	v_cndmask_b32_e64 v5, 0, 1, vcc
	v_add_u32_e32 v11, 0xfffffc10, v11
	v_cvt_f32_f16_e32 v6, v6
	v_or_b32_e32 v5, v14, v5
	v_lshl_or_b32 v13, v11, 12, v3
	v_cmp_gt_i32_e32 vcc, 1, v11
	v_cndmask_b32_e32 v5, v13, v5, vcc
	v_and_b32_e32 v13, 7, v5
	v_cmp_lt_i32_e32 vcc, 5, v13
	v_cmp_eq_u32_e64 s[2:3], 3, v13
	v_lshrrev_b32_e32 v13, 2, v5
	v_cvt_f64_f32_e32 v[5:6], v6
	s_or_b64 vcc, s[2:3], vcc
	v_addc_co_u32_e32 v13, vcc, 0, v13, vcc
	v_cmp_gt_i32_e32 vcc, 31, v11
	v_cndmask_b32_e32 v15, v9, v13, vcc
	v_mul_f64 v[13:14], v[5:6], s[14:15]
	v_cmp_ne_u32_e32 vcc, 0, v3
	v_cndmask_b32_e64 v3, 0, 1, vcc
	v_lshl_or_b32 v3, v3, 9, v9
	v_cmp_eq_u32_e32 vcc, s17, v11
	v_cndmask_b32_e32 v3, v15, v3, vcc
	v_lshrrev_b32_e32 v5, 16, v12
	v_and_or_b32 v3, v5, s18, v3
	v_and_or_b32 v5, v14, s19, v13
	v_cmp_ne_u32_e32 vcc, 0, v5
	v_cndmask_b32_e64 v5, 0, 1, vcc
	v_lshrrev_b32_e32 v6, 8, v14
	v_and_or_b32 v11, v6, s16, v5
	v_bfe_u32 v6, v14, 20, 11
	v_sub_u32_e32 v12, 0x3f1, v6
	v_or_b32_e32 v5, 0x1000, v11
	v_med3_i32 v12, v12, 0, 13
	v_lshrrev_b32_e32 v13, v12, v5
	v_lshlrev_b32_e32 v12, v12, v13
	v_cmp_ne_u32_e32 vcc, v12, v5
	v_cndmask_b32_e64 v5, 0, 1, vcc
	v_or_b32_e32 v5, v13, v5
	v_add_u32_e32 v13, 0xfffffc10, v6
	v_lshl_or_b32 v6, v13, 12, v11
	v_cmp_gt_i32_e32 vcc, 1, v13
	v_cndmask_b32_e32 v5, v6, v5, vcc
	v_and_b32_e32 v6, 7, v5
	v_cmp_lt_i32_e32 vcc, 5, v6
	v_cmp_eq_u32_e64 s[2:3], 3, v6
	v_lshrrev_b32_e32 v12, 2, v5
	ds_read2st64_b32 v[5:6], v70 offset0:134 offset1:142
	s_or_b64 vcc, s[2:3], vcc
	v_addc_co_u32_e32 v12, vcc, 0, v12, vcc
	v_cmp_gt_i32_e32 vcc, 31, v13
	s_waitcnt lgkmcnt(0)
	v_lshrrev_b32_e32 v16, 16, v5
	v_cndmask_b32_e32 v15, v9, v12, vcc
	v_mul_f16_sdwa v12, v86, v16 dst_sel:DWORD dst_unused:UNUSED_PAD src0_sel:WORD_1 src1_sel:DWORD
	v_fma_f16 v12, v86, v5, v12
	v_cvt_f32_f16_e32 v12, v12
	v_cmp_ne_u32_e32 vcc, 0, v11
	v_cndmask_b32_e64 v11, 0, 1, vcc
	v_lshl_or_b32 v17, v11, 9, v9
	v_cvt_f64_f32_e32 v[11:12], v12
	v_cmp_eq_u32_e32 vcc, s17, v13
	v_cndmask_b32_e32 v13, v15, v17, vcc
	v_lshrrev_b32_e32 v14, 16, v14
	v_mul_f64 v[11:12], v[11:12], s[14:15]
	v_and_or_b32 v13, v14, s18, v13
	v_and_b32_e32 v3, 0xffff, v3
	v_lshl_or_b32 v3, v13, 16, v3
	v_add_co_u32_e32 v13, vcc, s10, v7
	v_addc_co_u32_e32 v14, vcc, v8, v10, vcc
	global_store_dword v[13:14], v3, off
	v_and_or_b32 v3, v12, s19, v11
	v_cmp_ne_u32_e32 vcc, 0, v3
	v_cndmask_b32_e64 v3, 0, 1, vcc
	v_lshrrev_b32_e32 v7, 8, v12
	v_bfe_u32 v8, v12, 20, 11
	v_and_or_b32 v3, v7, s16, v3
	v_sub_u32_e32 v11, 0x3f1, v8
	v_or_b32_e32 v7, 0x1000, v3
	v_med3_i32 v11, v11, 0, 13
	v_lshrrev_b32_e32 v15, v11, v7
	v_lshlrev_b32_e32 v11, v11, v15
	v_mul_f16_sdwa v5, v86, v5 dst_sel:DWORD dst_unused:UNUSED_PAD src0_sel:WORD_1 src1_sel:DWORD
	v_cmp_ne_u32_e32 vcc, v11, v7
	v_fma_f16 v5, v86, v16, -v5
	v_cndmask_b32_e64 v7, 0, 1, vcc
	v_add_u32_e32 v11, 0xfffffc10, v8
	v_cvt_f32_f16_e32 v5, v5
	v_or_b32_e32 v7, v15, v7
	v_lshl_or_b32 v8, v11, 12, v3
	v_cmp_gt_i32_e32 vcc, 1, v11
	v_cndmask_b32_e32 v7, v8, v7, vcc
	v_and_b32_e32 v8, 7, v7
	v_cmp_lt_i32_e32 vcc, 5, v8
	v_cmp_eq_u32_e64 s[2:3], 3, v8
	v_lshrrev_b32_e32 v15, 2, v7
	v_cvt_f64_f32_e32 v[7:8], v5
	s_or_b64 vcc, s[2:3], vcc
	v_addc_co_u32_e32 v5, vcc, 0, v15, vcc
	v_mul_f64 v[15:16], v[7:8], s[14:15]
	v_cmp_gt_i32_e32 vcc, 31, v11
	v_cndmask_b32_e32 v5, v9, v5, vcc
	v_cmp_ne_u32_e32 vcc, 0, v3
	v_cndmask_b32_e64 v3, 0, 1, vcc
	v_lshl_or_b32 v3, v3, 9, v9
	v_cmp_eq_u32_e32 vcc, s17, v11
	v_cndmask_b32_e32 v3, v5, v3, vcc
	v_lshrrev_b32_e32 v5, 16, v12
	v_and_or_b32 v3, v5, s18, v3
	v_and_or_b32 v5, v16, s19, v15
	v_cmp_ne_u32_e32 vcc, 0, v5
	v_cndmask_b32_e64 v5, 0, 1, vcc
	v_lshrrev_b32_e32 v7, 8, v16
	v_bfe_u32 v8, v16, 20, 11
	v_and_or_b32 v5, v7, s16, v5
	v_sub_u32_e32 v11, 0x3f1, v8
	v_or_b32_e32 v7, 0x1000, v5
	v_med3_i32 v11, v11, 0, 13
	v_lshrrev_b32_e32 v12, v11, v7
	v_lshlrev_b32_e32 v11, v11, v12
	v_cmp_ne_u32_e32 vcc, v11, v7
	v_cndmask_b32_e64 v7, 0, 1, vcc
	v_add_u32_e32 v15, 0xfffffc10, v8
	v_or_b32_e32 v7, v12, v7
	v_lshl_or_b32 v8, v15, 12, v5
	v_cmp_gt_i32_e32 vcc, 1, v15
	v_cndmask_b32_e32 v7, v8, v7, vcc
	v_and_b32_e32 v8, 7, v7
	v_cmp_lt_i32_e32 vcc, 5, v8
	v_cmp_eq_u32_e64 s[2:3], 3, v8
	v_lshrrev_b32_e32 v11, 2, v7
	ds_read2st64_b32 v[7:8], v70 offset0:16 offset1:24
	s_or_b64 vcc, s[2:3], vcc
	v_addc_co_u32_e32 v11, vcc, 0, v11, vcc
	v_cmp_gt_i32_e32 vcc, 31, v15
	s_waitcnt lgkmcnt(0)
	v_lshrrev_b32_e32 v18, 16, v7
	v_cndmask_b32_e32 v17, v9, v11, vcc
	v_mul_f16_sdwa v11, v84, v18 dst_sel:DWORD dst_unused:UNUSED_PAD src0_sel:WORD_1 src1_sel:DWORD
	v_fma_f16 v11, v84, v7, v11
	v_cvt_f32_f16_e32 v11, v11
	v_cmp_ne_u32_e32 vcc, 0, v5
	v_cndmask_b32_e64 v5, 0, 1, vcc
	v_lshl_or_b32 v5, v5, 9, v9
	v_cvt_f64_f32_e32 v[11:12], v11
	v_cmp_eq_u32_e32 vcc, s17, v15
	v_cndmask_b32_e32 v5, v17, v5, vcc
	v_lshrrev_b32_e32 v15, 16, v16
	v_mul_f64 v[11:12], v[11:12], s[14:15]
	v_and_or_b32 v5, v15, s18, v5
	v_and_b32_e32 v3, 0xffff, v3
	v_add_co_u32_e32 v13, vcc, s10, v13
	v_lshl_or_b32 v3, v5, 16, v3
	v_addc_co_u32_e32 v14, vcc, v14, v10, vcc
	global_store_dword v[13:14], v3, off
	v_and_or_b32 v3, v12, s19, v11
	v_cmp_ne_u32_e32 vcc, 0, v3
	v_cndmask_b32_e64 v3, 0, 1, vcc
	v_lshrrev_b32_e32 v5, 8, v12
	v_bfe_u32 v11, v12, 20, 11
	v_and_or_b32 v3, v5, s16, v3
	v_sub_u32_e32 v15, 0x3f1, v11
	v_or_b32_e32 v5, 0x1000, v3
	v_med3_i32 v15, v15, 0, 13
	v_lshrrev_b32_e32 v16, v15, v5
	v_lshlrev_b32_e32 v15, v15, v16
	v_mul_f16_sdwa v7, v84, v7 dst_sel:DWORD dst_unused:UNUSED_PAD src0_sel:WORD_1 src1_sel:DWORD
	v_cmp_ne_u32_e32 vcc, v15, v5
	v_fma_f16 v7, v84, v18, -v7
	v_cndmask_b32_e64 v5, 0, 1, vcc
	v_add_u32_e32 v11, 0xfffffc10, v11
	v_cvt_f32_f16_e32 v7, v7
	v_or_b32_e32 v5, v16, v5
	v_lshl_or_b32 v15, v11, 12, v3
	v_cmp_gt_i32_e32 vcc, 1, v11
	v_cndmask_b32_e32 v5, v15, v5, vcc
	v_and_b32_e32 v15, 7, v5
	v_cmp_lt_i32_e32 vcc, 5, v15
	v_cmp_eq_u32_e64 s[2:3], 3, v15
	v_cvt_f64_f32_e32 v[15:16], v7
	v_lshrrev_b32_e32 v5, 2, v5
	s_or_b64 vcc, s[2:3], vcc
	v_addc_co_u32_e32 v5, vcc, 0, v5, vcc
	v_mul_f64 v[15:16], v[15:16], s[14:15]
	v_cmp_gt_i32_e32 vcc, 31, v11
	v_cndmask_b32_e32 v5, v9, v5, vcc
	v_cmp_ne_u32_e32 vcc, 0, v3
	v_cndmask_b32_e64 v3, 0, 1, vcc
	v_lshl_or_b32 v3, v3, 9, v9
	v_cmp_eq_u32_e32 vcc, s17, v11
	v_cndmask_b32_e32 v3, v5, v3, vcc
	v_lshrrev_b32_e32 v5, 16, v12
	v_and_or_b32 v3, v5, s18, v3
	v_and_or_b32 v5, v16, s19, v15
	v_cmp_ne_u32_e32 vcc, 0, v5
	v_cndmask_b32_e64 v5, 0, 1, vcc
	v_lshrrev_b32_e32 v7, 8, v16
	v_bfe_u32 v11, v16, 20, 11
	v_and_or_b32 v5, v7, s16, v5
	v_sub_u32_e32 v12, 0x3f1, v11
	v_or_b32_e32 v7, 0x1000, v5
	v_med3_i32 v12, v12, 0, 13
	v_lshrrev_b32_e32 v15, v12, v7
	v_lshlrev_b32_e32 v12, v12, v15
	v_cmp_ne_u32_e32 vcc, v12, v7
	v_cndmask_b32_e64 v7, 0, 1, vcc
	v_or_b32_e32 v7, v15, v7
	v_add_u32_e32 v15, 0xfffffc10, v11
	v_lshl_or_b32 v11, v15, 12, v5
	v_cmp_gt_i32_e32 vcc, 1, v15
	v_cndmask_b32_e32 v7, v11, v7, vcc
	v_and_b32_e32 v11, 7, v7
	v_lshrrev_b32_e32 v17, 16, v4
	v_cmp_lt_i32_e32 vcc, 5, v11
	v_cmp_eq_u32_e64 s[2:3], 3, v11
	v_mul_f16_sdwa v11, v82, v17 dst_sel:DWORD dst_unused:UNUSED_PAD src0_sel:WORD_1 src1_sel:DWORD
	v_fma_f16 v11, v82, v4, v11
	v_cvt_f32_f16_e32 v11, v11
	v_lshrrev_b32_e32 v7, 2, v7
	s_or_b64 vcc, s[2:3], vcc
	v_addc_co_u32_e32 v7, vcc, 0, v7, vcc
	v_cvt_f64_f32_e32 v[11:12], v11
	v_cmp_gt_i32_e32 vcc, 31, v15
	v_cndmask_b32_e32 v7, v9, v7, vcc
	v_cmp_ne_u32_e32 vcc, 0, v5
	v_mul_f64 v[11:12], v[11:12], s[14:15]
	v_cndmask_b32_e64 v5, 0, 1, vcc
	v_lshl_or_b32 v5, v5, 9, v9
	v_cmp_eq_u32_e32 vcc, s17, v15
	v_cndmask_b32_e32 v5, v7, v5, vcc
	v_lshrrev_b32_e32 v7, 16, v16
	v_and_or_b32 v5, v7, s18, v5
	v_and_b32_e32 v3, 0xffff, v3
	v_add_co_u32_e32 v13, vcc, s4, v13
	v_lshl_or_b32 v3, v5, 16, v3
	v_addc_co_u32_e32 v14, vcc, v14, v0, vcc
	global_store_dword v[13:14], v3, off
	v_and_or_b32 v3, v12, s19, v11
	v_cmp_ne_u32_e32 vcc, 0, v3
	v_cndmask_b32_e64 v3, 0, 1, vcc
	v_lshrrev_b32_e32 v5, 8, v12
	v_bfe_u32 v7, v12, 20, 11
	v_and_or_b32 v5, v5, s16, v3
	v_sub_u32_e32 v11, 0x3f1, v7
	v_or_b32_e32 v3, 0x1000, v5
	v_med3_i32 v11, v11, 0, 13
	v_lshrrev_b32_e32 v15, v11, v3
	v_lshlrev_b32_e32 v11, v11, v15
	v_mul_f16_sdwa v4, v82, v4 dst_sel:DWORD dst_unused:UNUSED_PAD src0_sel:WORD_1 src1_sel:DWORD
	v_cmp_ne_u32_e32 vcc, v11, v3
	v_fma_f16 v4, v82, v17, -v4
	v_cndmask_b32_e64 v3, 0, 1, vcc
	v_add_u32_e32 v7, 0xfffffc10, v7
	v_cvt_f32_f16_e32 v4, v4
	v_or_b32_e32 v3, v15, v3
	v_lshl_or_b32 v11, v7, 12, v5
	v_cmp_gt_i32_e32 vcc, 1, v7
	v_cndmask_b32_e32 v3, v11, v3, vcc
	v_and_b32_e32 v11, 7, v3
	v_cmp_lt_i32_e32 vcc, 5, v11
	v_cmp_eq_u32_e64 s[2:3], 3, v11
	v_lshrrev_b32_e32 v11, 2, v3
	v_cvt_f64_f32_e32 v[3:4], v4
	s_or_b64 vcc, s[2:3], vcc
	v_addc_co_u32_e32 v11, vcc, 0, v11, vcc
	v_mul_f64 v[15:16], v[3:4], s[14:15]
	v_cmp_gt_i32_e32 vcc, 31, v7
	v_cndmask_b32_e32 v11, v9, v11, vcc
	v_cmp_ne_u32_e32 vcc, 0, v5
	v_cndmask_b32_e64 v3, 0, 1, vcc
	v_lshl_or_b32 v3, v3, 9, v9
	v_cmp_eq_u32_e32 vcc, s17, v7
	v_cndmask_b32_e32 v3, v11, v3, vcc
	v_lshrrev_b32_e32 v4, 16, v12
	v_and_or_b32 v3, v4, s18, v3
	v_and_or_b32 v4, v16, s19, v15
	v_cmp_ne_u32_e32 vcc, 0, v4
	v_cndmask_b32_e64 v4, 0, 1, vcc
	v_lshrrev_b32_e32 v5, 8, v16
	v_and_or_b32 v7, v5, s16, v4
	v_bfe_u32 v5, v16, 20, 11
	v_sub_u32_e32 v11, 0x3f1, v5
	v_or_b32_e32 v4, 0x1000, v7
	v_med3_i32 v11, v11, 0, 13
	v_lshrrev_b32_e32 v12, v11, v4
	v_lshlrev_b32_e32 v11, v11, v12
	v_cmp_ne_u32_e32 vcc, v11, v4
	v_cndmask_b32_e64 v4, 0, 1, vcc
	v_add_u32_e32 v15, 0xfffffc10, v5
	v_or_b32_e32 v4, v12, v4
	v_lshl_or_b32 v5, v15, 12, v7
	v_cmp_gt_i32_e32 vcc, 1, v15
	v_cndmask_b32_e32 v4, v5, v4, vcc
	v_and_b32_e32 v5, 7, v4
	v_cmp_lt_i32_e32 vcc, 5, v5
	v_cmp_eq_u32_e64 s[2:3], 3, v5
	v_lshrrev_b32_e32 v11, 2, v4
	ds_read2st64_b32 v[4:5], v70 offset0:100 offset1:108
	s_or_b64 vcc, s[2:3], vcc
	v_addc_co_u32_e32 v11, vcc, 0, v11, vcc
	v_cmp_gt_i32_e32 vcc, 31, v15
	s_waitcnt lgkmcnt(0)
	v_lshrrev_b32_e32 v18, 16, v4
	v_cndmask_b32_e32 v17, v9, v11, vcc
	s_waitcnt vmcnt(9)
	v_mul_f16_sdwa v11, v19, v18 dst_sel:DWORD dst_unused:UNUSED_PAD src0_sel:WORD_1 src1_sel:DWORD
	v_fma_f16 v11, v19, v4, v11
	v_mul_f16_sdwa v4, v19, v4 dst_sel:DWORD dst_unused:UNUSED_PAD src0_sel:WORD_1 src1_sel:DWORD
	v_fma_f16 v4, v19, v18, -v4
	buffer_load_dword v18, off, s[28:31], 0 offset:44 ; 4-byte Folded Reload
	v_cvt_f32_f16_e32 v11, v11
	v_cmp_ne_u32_e32 vcc, 0, v7
	v_cndmask_b32_e64 v7, 0, 1, vcc
	v_lshl_or_b32 v7, v7, 9, v9
	v_cvt_f64_f32_e32 v[11:12], v11
	v_cmp_eq_u32_e32 vcc, s17, v15
	v_cndmask_b32_e32 v7, v17, v7, vcc
	v_lshrrev_b32_e32 v15, 16, v16
	v_mul_f64 v[11:12], v[11:12], s[14:15]
	v_and_or_b32 v7, v15, s18, v7
	v_and_b32_e32 v3, 0xffff, v3
	v_add_co_u32_e32 v13, vcc, s10, v13
	v_lshl_or_b32 v3, v7, 16, v3
	v_addc_co_u32_e32 v14, vcc, v14, v10, vcc
	global_store_dword v[13:14], v3, off
	v_and_or_b32 v3, v12, s19, v11
	v_cmp_ne_u32_e32 vcc, 0, v3
	v_cndmask_b32_e64 v3, 0, 1, vcc
	v_lshrrev_b32_e32 v7, 8, v12
	v_bfe_u32 v11, v12, 20, 11
	v_and_or_b32 v7, v7, s16, v3
	v_sub_u32_e32 v15, 0x3f1, v11
	v_or_b32_e32 v3, 0x1000, v7
	v_med3_i32 v15, v15, 0, 13
	v_lshrrev_b32_e32 v16, v15, v3
	v_lshlrev_b32_e32 v15, v15, v16
	v_cmp_ne_u32_e32 vcc, v15, v3
	v_cndmask_b32_e64 v3, 0, 1, vcc
	v_add_u32_e32 v11, 0xfffffc10, v11
	v_cvt_f32_f16_e32 v4, v4
	v_or_b32_e32 v3, v16, v3
	v_lshl_or_b32 v15, v11, 12, v7
	v_cmp_gt_i32_e32 vcc, 1, v11
	v_cndmask_b32_e32 v3, v15, v3, vcc
	v_and_b32_e32 v15, 7, v3
	v_cmp_lt_i32_e32 vcc, 5, v15
	v_cmp_eq_u32_e64 s[2:3], 3, v15
	v_lshrrev_b32_e32 v15, 2, v3
	v_cvt_f64_f32_e32 v[3:4], v4
	s_or_b64 vcc, s[2:3], vcc
	v_addc_co_u32_e32 v15, vcc, 0, v15, vcc
	v_mul_f64 v[3:4], v[3:4], s[14:15]
	v_cmp_gt_i32_e32 vcc, 31, v11
	v_cndmask_b32_e32 v15, v9, v15, vcc
	v_cmp_ne_u32_e32 vcc, 0, v7
	v_cndmask_b32_e64 v7, 0, 1, vcc
	v_lshl_or_b32 v7, v7, 9, v9
	v_cmp_eq_u32_e32 vcc, s17, v11
	v_cndmask_b32_e32 v7, v15, v7, vcc
	v_and_or_b32 v3, v4, s19, v3
	v_lshrrev_b32_e32 v11, 16, v12
	v_cmp_ne_u32_e32 vcc, 0, v3
	v_and_or_b32 v7, v11, s18, v7
	v_cndmask_b32_e64 v3, 0, 1, vcc
	v_lshrrev_b32_e32 v11, 8, v4
	v_bfe_u32 v12, v4, 20, 11
	v_and_or_b32 v3, v11, s16, v3
	v_sub_u32_e32 v15, 0x3f1, v12
	v_or_b32_e32 v11, 0x1000, v3
	v_med3_i32 v15, v15, 0, 13
	v_lshrrev_b32_e32 v16, v15, v11
	v_lshlrev_b32_e32 v15, v15, v16
	v_cmp_ne_u32_e32 vcc, v15, v11
	v_cndmask_b32_e64 v11, 0, 1, vcc
	v_add_u32_e32 v15, 0xfffffc10, v12
	v_or_b32_e32 v11, v16, v11
	v_lshl_or_b32 v12, v15, 12, v3
	v_cmp_gt_i32_e32 vcc, 1, v15
	v_cndmask_b32_e32 v11, v12, v11, vcc
	v_and_b32_e32 v12, 7, v11
	v_cmp_lt_i32_e32 vcc, 5, v12
	v_cmp_eq_u32_e64 s[2:3], 3, v12
	v_lshrrev_b32_e32 v11, 2, v11
	s_or_b64 vcc, s[2:3], vcc
	v_addc_co_u32_e32 v11, vcc, 0, v11, vcc
	v_cmp_gt_i32_e32 vcc, 31, v15
	v_lshrrev_b32_e32 v17, 16, v6
	v_cndmask_b32_e32 v16, v9, v11, vcc
	s_waitcnt vmcnt(1)
	v_mul_f16_sdwa v11, v18, v17 dst_sel:DWORD dst_unused:UNUSED_PAD src0_sel:WORD_1 src1_sel:DWORD
	v_fma_f16 v11, v18, v6, v11
	v_mul_f16_sdwa v6, v18, v6 dst_sel:DWORD dst_unused:UNUSED_PAD src0_sel:WORD_1 src1_sel:DWORD
	v_fma_f16 v6, v18, v17, -v6
	buffer_load_dword v17, off, s[28:31], 0 offset:40 ; 4-byte Folded Reload
	buffer_load_dword v18, off, s[28:31], 0 offset:36 ; 4-byte Folded Reload
	v_cvt_f32_f16_e32 v11, v11
	v_cmp_ne_u32_e32 vcc, 0, v3
	v_cndmask_b32_e64 v3, 0, 1, vcc
	v_lshl_or_b32 v3, v3, 9, v9
	v_cvt_f64_f32_e32 v[11:12], v11
	v_cmp_eq_u32_e32 vcc, s17, v15
	v_cndmask_b32_e32 v3, v16, v3, vcc
	v_lshrrev_b32_e32 v4, 16, v4
	v_and_or_b32 v15, v4, s18, v3
	v_mul_f64 v[3:4], v[11:12], s[14:15]
	v_add_co_u32_e32 v11, vcc, s10, v13
	v_and_b32_e32 v7, 0xffff, v7
	v_addc_co_u32_e32 v12, vcc, v14, v10, vcc
	v_lshl_or_b32 v7, v15, 16, v7
	global_store_dword v[11:12], v7, off
	v_and_or_b32 v3, v4, s19, v3
	v_cmp_ne_u32_e32 vcc, 0, v3
	v_cndmask_b32_e64 v3, 0, 1, vcc
	v_lshrrev_b32_e32 v7, 8, v4
	v_bfe_u32 v13, v4, 20, 11
	v_and_or_b32 v3, v7, s16, v3
	v_sub_u32_e32 v14, 0x3f1, v13
	v_or_b32_e32 v7, 0x1000, v3
	v_med3_i32 v14, v14, 0, 13
	v_lshrrev_b32_e32 v15, v14, v7
	v_lshlrev_b32_e32 v14, v14, v15
	v_cmp_ne_u32_e32 vcc, v14, v7
	v_cndmask_b32_e64 v7, 0, 1, vcc
	v_add_u32_e32 v13, 0xfffffc10, v13
	v_cvt_f32_f16_e32 v6, v6
	v_or_b32_e32 v7, v15, v7
	v_lshl_or_b32 v14, v13, 12, v3
	v_cmp_gt_i32_e32 vcc, 1, v13
	v_cndmask_b32_e32 v7, v14, v7, vcc
	v_and_b32_e32 v14, 7, v7
	v_cmp_lt_i32_e32 vcc, 5, v14
	v_cmp_eq_u32_e64 s[2:3], 3, v14
	v_lshrrev_b32_e32 v14, 2, v7
	v_cvt_f64_f32_e32 v[6:7], v6
	s_or_b64 vcc, s[2:3], vcc
	v_addc_co_u32_e32 v14, vcc, 0, v14, vcc
	v_mul_f64 v[6:7], v[6:7], s[14:15]
	v_cmp_gt_i32_e32 vcc, 31, v13
	v_cndmask_b32_e32 v14, v9, v14, vcc
	v_cmp_ne_u32_e32 vcc, 0, v3
	v_cndmask_b32_e64 v3, 0, 1, vcc
	v_lshl_or_b32 v3, v3, 9, v9
	v_cmp_eq_u32_e32 vcc, s17, v13
	v_cndmask_b32_e32 v3, v14, v3, vcc
	v_lshrrev_b32_e32 v4, 16, v4
	v_and_or_b32 v13, v4, s18, v3
	v_and_or_b32 v3, v7, s19, v6
	v_cmp_ne_u32_e32 vcc, 0, v3
	v_cndmask_b32_e64 v3, 0, 1, vcc
	v_lshrrev_b32_e32 v4, 8, v7
	v_bfe_u32 v6, v7, 20, 11
	v_and_or_b32 v3, v4, s16, v3
	v_sub_u32_e32 v14, 0x3f1, v6
	v_or_b32_e32 v4, 0x1000, v3
	v_med3_i32 v14, v14, 0, 13
	v_lshrrev_b32_e32 v15, v14, v4
	v_lshlrev_b32_e32 v14, v14, v15
	v_cmp_ne_u32_e32 vcc, v14, v4
	v_cndmask_b32_e64 v4, 0, 1, vcc
	v_add_u32_e32 v6, 0xfffffc10, v6
	v_or_b32_e32 v4, v15, v4
	v_lshl_or_b32 v14, v6, 12, v3
	v_cmp_gt_i32_e32 vcc, 1, v6
	v_cndmask_b32_e32 v4, v14, v4, vcc
	v_and_b32_e32 v14, 7, v4
	v_cmp_lt_i32_e32 vcc, 5, v14
	v_cmp_eq_u32_e64 s[2:3], 3, v14
	v_lshrrev_b32_e32 v4, 2, v4
	s_or_b64 vcc, s[2:3], vcc
	v_addc_co_u32_e32 v4, vcc, 0, v4, vcc
	v_cmp_gt_i32_e32 vcc, 31, v6
	v_lshrrev_b32_e32 v15, 16, v8
	v_cndmask_b32_e32 v14, v9, v4, vcc
	s_waitcnt vmcnt(2)
	v_mul_f16_sdwa v4, v17, v15 dst_sel:DWORD dst_unused:UNUSED_PAD src0_sel:WORD_1 src1_sel:DWORD
	v_fma_f16 v4, v17, v8, v4
	v_cvt_f32_f16_e32 v4, v4
	v_cmp_ne_u32_e32 vcc, 0, v3
	v_cndmask_b32_e64 v3, 0, 1, vcc
	v_lshl_or_b32 v16, v3, 9, v9
	v_cvt_f64_f32_e32 v[3:4], v4
	v_cmp_eq_u32_e32 vcc, s17, v6
	v_cndmask_b32_e32 v6, v14, v16, vcc
	v_lshrrev_b32_e32 v7, 16, v7
	v_mul_f64 v[3:4], v[3:4], s[14:15]
	v_and_or_b32 v6, v7, s18, v6
	v_and_b32_e32 v7, 0xffff, v13
	v_lshl_or_b32 v13, v6, 16, v7
	v_add_co_u32_e32 v6, vcc, s10, v11
	v_addc_co_u32_e32 v7, vcc, v12, v10, vcc
	v_and_or_b32 v3, v4, s19, v3
	v_cmp_ne_u32_e32 vcc, 0, v3
	v_cndmask_b32_e64 v3, 0, 1, vcc
	v_lshrrev_b32_e32 v11, 8, v4
	v_bfe_u32 v12, v4, 20, 11
	global_store_dword v[6:7], v13, off
	v_and_or_b32 v3, v11, s16, v3
	v_sub_u32_e32 v13, 0x3f1, v12
	v_or_b32_e32 v11, 0x1000, v3
	v_med3_i32 v13, v13, 0, 13
	v_lshrrev_b32_e32 v14, v13, v11
	v_lshlrev_b32_e32 v13, v13, v14
	v_mul_f16_sdwa v8, v17, v8 dst_sel:DWORD dst_unused:UNUSED_PAD src0_sel:WORD_1 src1_sel:DWORD
	v_cmp_ne_u32_e32 vcc, v13, v11
	v_fma_f16 v8, v17, v15, -v8
	v_cndmask_b32_e64 v11, 0, 1, vcc
	v_add_u32_e32 v13, 0xfffffc10, v12
	v_cvt_f32_f16_e32 v8, v8
	v_or_b32_e32 v11, v14, v11
	v_lshl_or_b32 v12, v13, 12, v3
	v_cmp_gt_i32_e32 vcc, 1, v13
	v_cndmask_b32_e32 v11, v12, v11, vcc
	v_and_b32_e32 v12, 7, v11
	v_cmp_lt_i32_e32 vcc, 5, v12
	v_cmp_eq_u32_e64 s[2:3], 3, v12
	v_lshrrev_b32_e32 v14, 2, v11
	v_cvt_f64_f32_e32 v[11:12], v8
	s_or_b64 vcc, s[2:3], vcc
	v_addc_co_u32_e32 v8, vcc, 0, v14, vcc
	v_mul_f64 v[11:12], v[11:12], s[14:15]
	v_cmp_gt_i32_e32 vcc, 31, v13
	v_cndmask_b32_e32 v8, v9, v8, vcc
	v_cmp_ne_u32_e32 vcc, 0, v3
	v_cndmask_b32_e64 v3, 0, 1, vcc
	v_lshl_or_b32 v3, v3, 9, v9
	v_cmp_eq_u32_e32 vcc, s17, v13
	v_cndmask_b32_e32 v3, v8, v3, vcc
	v_lshrrev_b32_e32 v4, 16, v4
	v_and_or_b32 v8, v4, s18, v3
	v_and_or_b32 v3, v12, s19, v11
	v_cmp_ne_u32_e32 vcc, 0, v3
	v_cndmask_b32_e64 v3, 0, 1, vcc
	v_lshrrev_b32_e32 v4, 8, v12
	v_and_or_b32 v11, v4, s16, v3
	v_bfe_u32 v4, v12, 20, 11
	v_sub_u32_e32 v13, 0x3f1, v4
	v_or_b32_e32 v3, 0x1000, v11
	v_med3_i32 v13, v13, 0, 13
	v_lshrrev_b32_e32 v14, v13, v3
	v_lshlrev_b32_e32 v13, v13, v14
	v_cmp_ne_u32_e32 vcc, v13, v3
	v_cndmask_b32_e64 v3, 0, 1, vcc
	v_add_u32_e32 v15, 0xfffffc10, v4
	v_or_b32_e32 v3, v14, v3
	v_lshl_or_b32 v4, v15, 12, v11
	v_cmp_gt_i32_e32 vcc, 1, v15
	v_cndmask_b32_e32 v3, v4, v3, vcc
	v_and_b32_e32 v4, 7, v3
	v_cmp_lt_i32_e32 vcc, 5, v4
	v_cmp_eq_u32_e64 s[2:3], 3, v4
	v_lshrrev_b32_e32 v13, 2, v3
	ds_read2st64_b32 v[3:4], v70 offset0:66 offset1:74
	s_or_b64 vcc, s[2:3], vcc
	v_addc_co_u32_e32 v13, vcc, 0, v13, vcc
	v_cmp_gt_i32_e32 vcc, 31, v15
	s_waitcnt lgkmcnt(0)
	v_lshrrev_b32_e32 v17, 16, v3
	v_cndmask_b32_e32 v16, v9, v13, vcc
	s_waitcnt vmcnt(2)
	v_mul_f16_sdwa v13, v18, v17 dst_sel:DWORD dst_unused:UNUSED_PAD src0_sel:WORD_1 src1_sel:DWORD
	v_fma_f16 v13, v18, v3, v13
	v_mul_f16_sdwa v3, v18, v3 dst_sel:DWORD dst_unused:UNUSED_PAD src0_sel:WORD_1 src1_sel:DWORD
	v_fma_f16 v3, v18, v17, -v3
	buffer_load_dword v17, off, s[28:31], 0 offset:32 ; 4-byte Folded Reload
	buffer_load_dword v18, off, s[28:31], 0 offset:28 ; 4-byte Folded Reload
	v_cvt_f32_f16_e32 v13, v13
	v_cmp_ne_u32_e32 vcc, 0, v11
	v_cndmask_b32_e64 v11, 0, 1, vcc
	v_lshl_or_b32 v11, v11, 9, v9
	v_cvt_f64_f32_e32 v[13:14], v13
	v_cmp_eq_u32_e32 vcc, s17, v15
	v_cndmask_b32_e32 v11, v16, v11, vcc
	v_lshrrev_b32_e32 v12, 16, v12
	v_and_or_b32 v15, v12, s18, v11
	v_mul_f64 v[11:12], v[13:14], s[14:15]
	v_and_b32_e32 v8, 0xffff, v8
	v_add_co_u32_e32 v6, vcc, s4, v6
	v_lshl_or_b32 v8, v15, 16, v8
	v_addc_co_u32_e32 v7, vcc, v7, v0, vcc
	global_store_dword v[6:7], v8, off
	v_and_or_b32 v8, v12, s19, v11
	v_cmp_ne_u32_e32 vcc, 0, v8
	v_cndmask_b32_e64 v8, 0, 1, vcc
	v_lshrrev_b32_e32 v11, 8, v12
	v_bfe_u32 v13, v12, 20, 11
	v_and_or_b32 v8, v11, s16, v8
	v_sub_u32_e32 v14, 0x3f1, v13
	v_or_b32_e32 v11, 0x1000, v8
	v_med3_i32 v14, v14, 0, 13
	v_lshrrev_b32_e32 v15, v14, v11
	v_lshlrev_b32_e32 v14, v14, v15
	v_cmp_ne_u32_e32 vcc, v14, v11
	v_cndmask_b32_e64 v11, 0, 1, vcc
	v_or_b32_e32 v11, v15, v11
	v_add_u32_e32 v15, 0xfffffc10, v13
	v_cvt_f32_f16_e32 v3, v3
	v_lshl_or_b32 v13, v15, 12, v8
	v_cmp_gt_i32_e32 vcc, 1, v15
	v_cndmask_b32_e32 v11, v13, v11, vcc
	v_and_b32_e32 v13, 7, v11
	v_cmp_lt_i32_e32 vcc, 5, v13
	v_cmp_eq_u32_e64 s[2:3], 3, v13
	v_cvt_f64_f32_e32 v[13:14], v3
	v_lshrrev_b32_e32 v11, 2, v11
	s_or_b64 vcc, s[2:3], vcc
	v_addc_co_u32_e32 v3, vcc, 0, v11, vcc
	v_mul_f64 v[13:14], v[13:14], s[14:15]
	v_cmp_gt_i32_e32 vcc, 31, v15
	v_cndmask_b32_e32 v3, v9, v3, vcc
	v_cmp_ne_u32_e32 vcc, 0, v8
	v_cndmask_b32_e64 v8, 0, 1, vcc
	v_lshl_or_b32 v8, v8, 9, v9
	v_cmp_eq_u32_e32 vcc, s17, v15
	v_cndmask_b32_e32 v3, v3, v8, vcc
	v_lshrrev_b32_e32 v8, 16, v12
	v_and_or_b32 v3, v8, s18, v3
	v_and_or_b32 v8, v14, s19, v13
	v_cmp_ne_u32_e32 vcc, 0, v8
	v_cndmask_b32_e64 v8, 0, 1, vcc
	v_lshrrev_b32_e32 v11, 8, v14
	v_bfe_u32 v12, v14, 20, 11
	v_and_or_b32 v8, v11, s16, v8
	v_sub_u32_e32 v13, 0x3f1, v12
	v_or_b32_e32 v11, 0x1000, v8
	v_med3_i32 v13, v13, 0, 13
	v_lshrrev_b32_e32 v15, v13, v11
	v_lshlrev_b32_e32 v13, v13, v15
	v_cmp_ne_u32_e32 vcc, v13, v11
	v_cndmask_b32_e64 v11, 0, 1, vcc
	v_add_u32_e32 v13, 0xfffffc10, v12
	v_or_b32_e32 v11, v15, v11
	v_lshl_or_b32 v12, v13, 12, v8
	v_cmp_gt_i32_e32 vcc, 1, v13
	v_cndmask_b32_e32 v11, v12, v11, vcc
	v_and_b32_e32 v12, 7, v11
	v_cmp_lt_i32_e32 vcc, 5, v12
	v_cmp_eq_u32_e64 s[2:3], 3, v12
	v_lshrrev_b32_e32 v11, 2, v11
	s_or_b64 vcc, s[2:3], vcc
	v_addc_co_u32_e32 v11, vcc, 0, v11, vcc
	v_cmp_gt_i32_e32 vcc, 31, v13
	v_lshrrev_b32_e32 v16, 16, v5
	v_cndmask_b32_e32 v15, v9, v11, vcc
	s_waitcnt vmcnt(2)
	v_mul_f16_sdwa v11, v17, v16 dst_sel:DWORD dst_unused:UNUSED_PAD src0_sel:WORD_1 src1_sel:DWORD
	v_fma_f16 v11, v17, v5, v11
	v_cvt_f32_f16_e32 v11, v11
	v_cmp_ne_u32_e32 vcc, 0, v8
	v_cndmask_b32_e64 v8, 0, 1, vcc
	v_lshl_or_b32 v8, v8, 9, v9
	v_cvt_f64_f32_e32 v[11:12], v11
	v_cmp_eq_u32_e32 vcc, s17, v13
	v_cndmask_b32_e32 v8, v15, v8, vcc
	v_lshrrev_b32_e32 v13, 16, v14
	v_mul_f64 v[11:12], v[11:12], s[14:15]
	v_and_or_b32 v8, v13, s18, v8
	v_and_b32_e32 v3, 0xffff, v3
	v_add_co_u32_e32 v13, vcc, s10, v6
	v_lshl_or_b32 v3, v8, 16, v3
	v_addc_co_u32_e32 v14, vcc, v7, v10, vcc
	global_store_dword v[13:14], v3, off
	v_and_or_b32 v3, v12, s19, v11
	v_cmp_ne_u32_e32 vcc, 0, v3
	v_cndmask_b32_e64 v3, 0, 1, vcc
	v_lshrrev_b32_e32 v6, 8, v12
	v_bfe_u32 v7, v12, 20, 11
	v_and_or_b32 v3, v6, s16, v3
	v_sub_u32_e32 v8, 0x3f1, v7
	v_or_b32_e32 v6, 0x1000, v3
	v_med3_i32 v8, v8, 0, 13
	v_lshrrev_b32_e32 v11, v8, v6
	v_lshlrev_b32_e32 v8, v8, v11
	v_mul_f16_sdwa v5, v17, v5 dst_sel:DWORD dst_unused:UNUSED_PAD src0_sel:WORD_1 src1_sel:DWORD
	v_cmp_ne_u32_e32 vcc, v8, v6
	v_fma_f16 v5, v17, v16, -v5
	v_cndmask_b32_e64 v6, 0, 1, vcc
	v_add_u32_e32 v8, 0xfffffc10, v7
	v_cvt_f32_f16_e32 v5, v5
	v_or_b32_e32 v6, v11, v6
	v_lshl_or_b32 v7, v8, 12, v3
	v_cmp_gt_i32_e32 vcc, 1, v8
	v_cndmask_b32_e32 v6, v7, v6, vcc
	v_and_b32_e32 v7, 7, v6
	v_cmp_lt_i32_e32 vcc, 5, v7
	v_cmp_eq_u32_e64 s[2:3], 3, v7
	v_lshrrev_b32_e32 v7, 2, v6
	v_cvt_f64_f32_e32 v[5:6], v5
	s_or_b64 vcc, s[2:3], vcc
	v_addc_co_u32_e32 v7, vcc, 0, v7, vcc
	v_cmp_gt_i32_e32 vcc, 31, v8
	v_cndmask_b32_e32 v11, v9, v7, vcc
	v_mul_f64 v[6:7], v[5:6], s[14:15]
	v_cmp_ne_u32_e32 vcc, 0, v3
	v_cndmask_b32_e64 v3, 0, 1, vcc
	v_lshl_or_b32 v3, v3, 9, v9
	v_cmp_eq_u32_e32 vcc, s17, v8
	v_cndmask_b32_e32 v3, v11, v3, vcc
	v_lshrrev_b32_e32 v5, 16, v12
	v_and_or_b32 v3, v5, s18, v3
	v_and_or_b32 v5, v7, s19, v6
	v_cmp_ne_u32_e32 vcc, 0, v5
	v_cndmask_b32_e64 v5, 0, 1, vcc
	v_lshrrev_b32_e32 v6, 8, v7
	v_and_or_b32 v8, v6, s16, v5
	v_bfe_u32 v6, v7, 20, 11
	v_sub_u32_e32 v11, 0x3f1, v6
	v_or_b32_e32 v5, 0x1000, v8
	v_med3_i32 v11, v11, 0, 13
	v_lshrrev_b32_e32 v12, v11, v5
	v_lshlrev_b32_e32 v11, v11, v12
	v_cmp_ne_u32_e32 vcc, v11, v5
	v_cndmask_b32_e64 v5, 0, 1, vcc
	v_add_u32_e32 v15, 0xfffffc10, v6
	v_or_b32_e32 v5, v12, v5
	v_lshl_or_b32 v6, v15, 12, v8
	v_cmp_gt_i32_e32 vcc, 1, v15
	v_cndmask_b32_e32 v5, v6, v5, vcc
	v_and_b32_e32 v6, 7, v5
	v_cmp_lt_i32_e32 vcc, 5, v6
	v_cmp_eq_u32_e64 s[2:3], 3, v6
	v_lshrrev_b32_e32 v11, 2, v5
	ds_read2st64_b32 v[5:6], v70 offset0:150 offset1:158
	s_or_b64 vcc, s[2:3], vcc
	v_addc_co_u32_e32 v11, vcc, 0, v11, vcc
	v_cmp_gt_i32_e32 vcc, 31, v15
	s_waitcnt lgkmcnt(0)
	v_lshrrev_b32_e32 v17, 16, v5
	v_cndmask_b32_e32 v16, v9, v11, vcc
	s_waitcnt vmcnt(2)
	v_mul_f16_sdwa v11, v18, v17 dst_sel:DWORD dst_unused:UNUSED_PAD src0_sel:WORD_1 src1_sel:DWORD
	v_fma_f16 v11, v18, v5, v11
	v_mul_f16_sdwa v5, v18, v5 dst_sel:DWORD dst_unused:UNUSED_PAD src0_sel:WORD_1 src1_sel:DWORD
	v_fma_f16 v5, v18, v17, -v5
	buffer_load_dword v17, off, s[28:31], 0 offset:24 ; 4-byte Folded Reload
	v_cvt_f32_f16_e32 v11, v11
	v_cmp_ne_u32_e32 vcc, 0, v8
	v_cndmask_b32_e64 v8, 0, 1, vcc
	v_lshl_or_b32 v8, v8, 9, v9
	v_cvt_f64_f32_e32 v[11:12], v11
	v_cmp_eq_u32_e32 vcc, s17, v15
	v_cndmask_b32_e32 v8, v16, v8, vcc
	v_lshrrev_b32_e32 v7, 16, v7
	v_and_or_b32 v15, v7, s18, v8
	v_mul_f64 v[7:8], v[11:12], s[14:15]
	v_and_b32_e32 v3, 0xffff, v3
	v_add_co_u32_e32 v11, vcc, s10, v13
	v_lshl_or_b32 v3, v15, 16, v3
	v_addc_co_u32_e32 v12, vcc, v14, v10, vcc
	global_store_dword v[11:12], v3, off
	v_and_or_b32 v3, v8, s19, v7
	v_cmp_ne_u32_e32 vcc, 0, v3
	v_cndmask_b32_e64 v3, 0, 1, vcc
	v_lshrrev_b32_e32 v7, 8, v8
	v_bfe_u32 v13, v8, 20, 11
	v_and_or_b32 v3, v7, s16, v3
	v_sub_u32_e32 v14, 0x3f1, v13
	v_or_b32_e32 v7, 0x1000, v3
	v_med3_i32 v14, v14, 0, 13
	v_lshrrev_b32_e32 v15, v14, v7
	v_lshlrev_b32_e32 v14, v14, v15
	v_cmp_ne_u32_e32 vcc, v14, v7
	v_cndmask_b32_e64 v7, 0, 1, vcc
	v_or_b32_e32 v7, v15, v7
	v_add_u32_e32 v15, 0xfffffc10, v13
	v_cvt_f32_f16_e32 v5, v5
	v_lshl_or_b32 v13, v15, 12, v3
	v_cmp_gt_i32_e32 vcc, 1, v15
	v_cndmask_b32_e32 v7, v13, v7, vcc
	v_and_b32_e32 v13, 7, v7
	v_cmp_lt_i32_e32 vcc, 5, v13
	v_cmp_eq_u32_e64 s[2:3], 3, v13
	v_cvt_f64_f32_e32 v[13:14], v5
	v_lshrrev_b32_e32 v7, 2, v7
	s_or_b64 vcc, s[2:3], vcc
	v_addc_co_u32_e32 v5, vcc, 0, v7, vcc
	v_mul_f64 v[13:14], v[13:14], s[14:15]
	v_cmp_gt_i32_e32 vcc, 31, v15
	v_cndmask_b32_e32 v5, v9, v5, vcc
	v_cmp_ne_u32_e32 vcc, 0, v3
	v_cndmask_b32_e64 v3, 0, 1, vcc
	v_lshl_or_b32 v3, v3, 9, v9
	v_cmp_eq_u32_e32 vcc, s17, v15
	v_cndmask_b32_e32 v3, v5, v3, vcc
	v_lshrrev_b32_e32 v5, 16, v8
	v_and_or_b32 v3, v5, s18, v3
	v_and_or_b32 v5, v14, s19, v13
	v_cmp_ne_u32_e32 vcc, 0, v5
	v_cndmask_b32_e64 v5, 0, 1, vcc
	v_lshrrev_b32_e32 v7, 8, v14
	v_bfe_u32 v8, v14, 20, 11
	v_and_or_b32 v5, v7, s16, v5
	v_sub_u32_e32 v13, 0x3f1, v8
	v_or_b32_e32 v7, 0x1000, v5
	v_med3_i32 v13, v13, 0, 13
	v_lshrrev_b32_e32 v15, v13, v7
	v_lshlrev_b32_e32 v13, v13, v15
	v_cmp_ne_u32_e32 vcc, v13, v7
	v_cndmask_b32_e64 v7, 0, 1, vcc
	v_add_u32_e32 v13, 0xfffffc10, v8
	v_or_b32_e32 v7, v15, v7
	v_lshl_or_b32 v8, v13, 12, v5
	v_cmp_gt_i32_e32 vcc, 1, v13
	v_cndmask_b32_e32 v7, v8, v7, vcc
	v_and_b32_e32 v8, 7, v7
	v_cmp_lt_i32_e32 vcc, 5, v8
	v_cmp_eq_u32_e64 s[2:3], 3, v8
	v_lshrrev_b32_e32 v7, 2, v7
	s_or_b64 vcc, s[2:3], vcc
	v_addc_co_u32_e32 v7, vcc, 0, v7, vcc
	v_cmp_gt_i32_e32 vcc, 31, v13
	v_lshrrev_b32_e32 v16, 16, v1
	v_cndmask_b32_e32 v15, v9, v7, vcc
	s_waitcnt vmcnt(1)
	v_mul_f16_sdwa v7, v17, v16 dst_sel:DWORD dst_unused:UNUSED_PAD src0_sel:WORD_1 src1_sel:DWORD
	v_fma_f16 v7, v17, v1, v7
	v_cvt_f32_f16_e32 v7, v7
	v_mul_f16_sdwa v1, v17, v1 dst_sel:DWORD dst_unused:UNUSED_PAD src0_sel:WORD_1 src1_sel:DWORD
	v_fma_f16 v1, v17, v16, -v1
	buffer_load_dword v16, off, s[28:31], 0 offset:20 ; 4-byte Folded Reload
	v_cvt_f64_f32_e32 v[7:8], v7
	v_cmp_ne_u32_e32 vcc, 0, v5
	v_cndmask_b32_e64 v5, 0, 1, vcc
	v_lshl_or_b32 v5, v5, 9, v9
	v_mul_f64 v[7:8], v[7:8], s[14:15]
	v_cmp_eq_u32_e32 vcc, s17, v13
	v_cndmask_b32_e32 v5, v15, v5, vcc
	v_lshrrev_b32_e32 v13, 16, v14
	v_and_or_b32 v5, v13, s18, v5
	v_and_b32_e32 v3, 0xffff, v3
	v_add_co_u32_e32 v11, vcc, s10, v11
	v_lshl_or_b32 v3, v5, 16, v3
	v_addc_co_u32_e32 v12, vcc, v12, v10, vcc
	global_store_dword v[11:12], v3, off
	v_and_or_b32 v3, v8, s19, v7
	v_cmp_ne_u32_e32 vcc, 0, v3
	v_cndmask_b32_e64 v3, 0, 1, vcc
	v_lshrrev_b32_e32 v5, 8, v8
	v_bfe_u32 v7, v8, 20, 11
	v_and_or_b32 v3, v5, s16, v3
	v_sub_u32_e32 v13, 0x3f1, v7
	v_or_b32_e32 v5, 0x1000, v3
	v_med3_i32 v13, v13, 0, 13
	v_lshrrev_b32_e32 v14, v13, v5
	v_lshlrev_b32_e32 v13, v13, v14
	v_cmp_ne_u32_e32 vcc, v13, v5
	v_cndmask_b32_e64 v5, 0, 1, vcc
	v_add_u32_e32 v7, 0xfffffc10, v7
	v_cvt_f32_f16_e32 v1, v1
	v_or_b32_e32 v5, v14, v5
	v_lshl_or_b32 v13, v7, 12, v3
	v_cmp_gt_i32_e32 vcc, 1, v7
	v_cndmask_b32_e32 v5, v13, v5, vcc
	v_and_b32_e32 v13, 7, v5
	v_cmp_lt_i32_e32 vcc, 5, v13
	v_cmp_eq_u32_e64 s[2:3], 3, v13
	v_cvt_f64_f32_e32 v[13:14], v1
	v_lshrrev_b32_e32 v5, 2, v5
	s_or_b64 vcc, s[2:3], vcc
	v_addc_co_u32_e32 v1, vcc, 0, v5, vcc
	v_mul_f64 v[13:14], v[13:14], s[14:15]
	v_cmp_gt_i32_e32 vcc, 31, v7
	v_cndmask_b32_e32 v1, v9, v1, vcc
	v_cmp_ne_u32_e32 vcc, 0, v3
	v_cndmask_b32_e64 v3, 0, 1, vcc
	v_lshl_or_b32 v3, v3, 9, v9
	v_cmp_eq_u32_e32 vcc, s17, v7
	v_cndmask_b32_e32 v1, v1, v3, vcc
	v_lshrrev_b32_e32 v3, 16, v8
	v_and_or_b32 v1, v3, s18, v1
	v_and_or_b32 v3, v14, s19, v13
	v_cmp_ne_u32_e32 vcc, 0, v3
	v_cndmask_b32_e64 v3, 0, 1, vcc
	v_lshrrev_b32_e32 v5, 8, v14
	v_bfe_u32 v7, v14, 20, 11
	v_and_or_b32 v3, v5, s16, v3
	v_sub_u32_e32 v8, 0x3f1, v7
	v_or_b32_e32 v5, 0x1000, v3
	v_med3_i32 v8, v8, 0, 13
	v_lshrrev_b32_e32 v13, v8, v5
	v_lshlrev_b32_e32 v8, v8, v13
	v_cmp_ne_u32_e32 vcc, v8, v5
	v_cndmask_b32_e64 v5, 0, 1, vcc
	v_or_b32_e32 v5, v13, v5
	v_add_u32_e32 v13, 0xfffffc10, v7
	v_lshl_or_b32 v7, v13, 12, v3
	v_cmp_gt_i32_e32 vcc, 1, v13
	v_cndmask_b32_e32 v5, v7, v5, vcc
	v_and_b32_e32 v7, 7, v5
	v_cmp_lt_i32_e32 vcc, 5, v7
	v_cmp_eq_u32_e64 s[2:3], 3, v7
	v_lshrrev_b32_e32 v5, 2, v5
	s_or_b64 vcc, s[2:3], vcc
	v_addc_co_u32_e32 v5, vcc, 0, v5, vcc
	v_cmp_gt_i32_e32 vcc, 31, v13
	v_cndmask_b32_e32 v5, v9, v5, vcc
	v_cmp_ne_u32_e32 vcc, 0, v3
	v_cndmask_b32_e64 v3, 0, 1, vcc
	v_lshl_or_b32 v3, v3, 9, v9
	v_cmp_eq_u32_e32 vcc, s17, v13
	v_cndmask_b32_e32 v3, v5, v3, vcc
	v_lshrrev_b32_e32 v5, 16, v14
	buffer_load_dword v14, off, s[28:31], 0 offset:12 ; 4-byte Folded Reload
	v_lshrrev_b32_e32 v15, 16, v4
	s_waitcnt vmcnt(2)
	v_mul_f16_sdwa v7, v16, v15 dst_sel:DWORD dst_unused:UNUSED_PAD src0_sel:WORD_1 src1_sel:DWORD
	v_fma_f16 v7, v16, v4, v7
	v_cvt_f32_f16_e32 v7, v7
	v_add_co_u32_e32 v11, vcc, s4, v11
	v_and_or_b32 v3, v5, s18, v3
	v_cvt_f64_f32_e32 v[7:8], v7
	v_and_b32_e32 v1, 0xffff, v1
	v_addc_co_u32_e32 v12, vcc, v12, v0, vcc
	v_mul_f64 v[7:8], v[7:8], s[14:15]
	v_lshl_or_b32 v1, v3, 16, v1
	global_store_dword v[11:12], v1, off
	v_mul_f16_sdwa v4, v16, v4 dst_sel:DWORD dst_unused:UNUSED_PAD src0_sel:WORD_1 src1_sel:DWORD
	v_fma_f16 v4, v16, v15, -v4
	v_cvt_f32_f16_e32 v4, v4
	v_lshrrev_b32_e32 v13, 16, v2
	v_and_or_b32 v0, v8, s19, v7
	v_cmp_ne_u32_e32 vcc, 0, v0
	v_cndmask_b32_e64 v0, 0, 1, vcc
	v_lshrrev_b32_e32 v1, 8, v8
	v_and_or_b32 v3, v1, s16, v0
	v_bfe_u32 v1, v8, 20, 11
	v_sub_u32_e32 v5, 0x3f1, v1
	v_or_b32_e32 v0, 0x1000, v3
	v_med3_i32 v5, v5, 0, 13
	v_lshrrev_b32_e32 v7, v5, v0
	v_lshlrev_b32_e32 v5, v5, v7
	v_cmp_ne_u32_e32 vcc, v5, v0
	v_cndmask_b32_e64 v0, 0, 1, vcc
	v_add_u32_e32 v5, 0xfffffc10, v1
	v_or_b32_e32 v0, v7, v0
	v_lshl_or_b32 v1, v5, 12, v3
	v_cmp_gt_i32_e32 vcc, 1, v5
	v_cndmask_b32_e32 v0, v1, v0, vcc
	v_and_b32_e32 v1, 7, v0
	v_cmp_lt_i32_e32 vcc, 5, v1
	v_cmp_eq_u32_e64 s[2:3], 3, v1
	v_lshrrev_b32_e32 v7, 2, v0
	v_cvt_f64_f32_e32 v[0:1], v4
	s_or_b64 vcc, s[2:3], vcc
	v_addc_co_u32_e32 v4, vcc, 0, v7, vcc
	v_mul_f64 v[0:1], v[0:1], s[14:15]
	v_cmp_gt_i32_e32 vcc, 31, v5
	v_cndmask_b32_e32 v4, v9, v4, vcc
	v_cmp_ne_u32_e32 vcc, 0, v3
	v_cndmask_b32_e64 v3, 0, 1, vcc
	v_lshl_or_b32 v3, v3, 9, v9
	v_cmp_eq_u32_e32 vcc, s17, v5
	v_cndmask_b32_e32 v3, v4, v3, vcc
	v_and_or_b32 v0, v1, s19, v0
	v_lshrrev_b32_e32 v4, 16, v8
	v_cmp_ne_u32_e32 vcc, 0, v0
	v_and_or_b32 v5, v4, s18, v3
	v_cndmask_b32_e64 v0, 0, 1, vcc
	v_lshrrev_b32_e32 v3, 8, v1
	v_bfe_u32 v4, v1, 20, 11
	v_and_or_b32 v0, v3, s16, v0
	v_sub_u32_e32 v7, 0x3f1, v4
	v_or_b32_e32 v3, 0x1000, v0
	v_med3_i32 v7, v7, 0, 13
	v_lshrrev_b32_e32 v8, v7, v3
	v_lshlrev_b32_e32 v7, v7, v8
	v_cmp_ne_u32_e32 vcc, v7, v3
	v_cndmask_b32_e64 v3, 0, 1, vcc
	v_add_u32_e32 v7, 0xfffffc10, v4
	v_or_b32_e32 v3, v8, v3
	v_lshl_or_b32 v4, v7, 12, v0
	v_cmp_gt_i32_e32 vcc, 1, v7
	v_cndmask_b32_e32 v3, v4, v3, vcc
	v_and_b32_e32 v4, 7, v3
	v_cmp_lt_i32_e32 vcc, 5, v4
	v_cmp_eq_u32_e64 s[2:3], 3, v4
	v_lshrrev_b32_e32 v3, 2, v3
	s_or_b64 vcc, s[2:3], vcc
	v_addc_co_u32_e32 v3, vcc, 0, v3, vcc
	v_cmp_gt_i32_e32 vcc, 31, v7
	v_cndmask_b32_e32 v8, v9, v3, vcc
	s_waitcnt vmcnt(1)
	v_mul_f16_sdwa v3, v14, v13 dst_sel:DWORD dst_unused:UNUSED_PAD src0_sel:WORD_1 src1_sel:DWORD
	v_fma_f16 v3, v14, v2, v3
	v_mul_f16_sdwa v2, v14, v2 dst_sel:DWORD dst_unused:UNUSED_PAD src0_sel:WORD_1 src1_sel:DWORD
	v_fma_f16 v2, v14, v13, -v2
	buffer_load_dword v13, off, s[28:31], 0 offset:8 ; 4-byte Folded Reload
	v_cvt_f32_f16_e32 v3, v3
	v_cmp_ne_u32_e32 vcc, 0, v0
	v_cndmask_b32_e64 v0, 0, 1, vcc
	v_lshl_or_b32 v0, v0, 9, v9
	v_cvt_f64_f32_e32 v[3:4], v3
	v_cmp_eq_u32_e32 vcc, s17, v7
	v_cndmask_b32_e32 v0, v8, v0, vcc
	v_lshrrev_b32_e32 v1, 16, v1
	v_and_or_b32 v7, v1, s18, v0
	v_mul_f64 v[0:1], v[3:4], s[14:15]
	v_and_b32_e32 v3, 0xffff, v5
	v_lshl_or_b32 v5, v7, 16, v3
	v_add_co_u32_e32 v3, vcc, s10, v11
	v_addc_co_u32_e32 v4, vcc, v12, v10, vcc
	global_store_dword v[3:4], v5, off
	v_and_or_b32 v0, v1, s19, v0
	v_cmp_ne_u32_e32 vcc, 0, v0
	v_cndmask_b32_e64 v0, 0, 1, vcc
	v_lshrrev_b32_e32 v5, 8, v1
	v_bfe_u32 v7, v1, 20, 11
	v_and_or_b32 v0, v5, s16, v0
	v_sub_u32_e32 v8, 0x3f1, v7
	v_or_b32_e32 v5, 0x1000, v0
	v_med3_i32 v8, v8, 0, 13
	v_lshrrev_b32_e32 v11, v8, v5
	v_lshlrev_b32_e32 v8, v8, v11
	v_cmp_ne_u32_e32 vcc, v8, v5
	v_cndmask_b32_e64 v5, 0, 1, vcc
	v_or_b32_e32 v5, v11, v5
	v_add_u32_e32 v11, 0xfffffc10, v7
	v_cvt_f32_f16_e32 v2, v2
	v_lshl_or_b32 v7, v11, 12, v0
	v_cmp_gt_i32_e32 vcc, 1, v11
	v_cndmask_b32_e32 v5, v7, v5, vcc
	v_and_b32_e32 v7, 7, v5
	v_cmp_lt_i32_e32 vcc, 5, v7
	v_cmp_eq_u32_e64 s[2:3], 3, v7
	v_cvt_f64_f32_e32 v[7:8], v2
	v_lshrrev_b32_e32 v5, 2, v5
	s_or_b64 vcc, s[2:3], vcc
	v_addc_co_u32_e32 v2, vcc, 0, v5, vcc
	v_mul_f64 v[7:8], v[7:8], s[14:15]
	v_cmp_gt_i32_e32 vcc, 31, v11
	v_cndmask_b32_e32 v2, v9, v2, vcc
	v_cmp_ne_u32_e32 vcc, 0, v0
	v_cndmask_b32_e64 v0, 0, 1, vcc
	v_lshl_or_b32 v0, v0, 9, v9
	v_cmp_eq_u32_e32 vcc, s17, v11
	v_cndmask_b32_e32 v0, v2, v0, vcc
	v_lshrrev_b32_e32 v1, 16, v1
	v_and_or_b32 v2, v1, s18, v0
	v_and_or_b32 v0, v8, s19, v7
	v_cmp_ne_u32_e32 vcc, 0, v0
	v_cndmask_b32_e64 v0, 0, 1, vcc
	v_lshrrev_b32_e32 v1, 8, v8
	v_bfe_u32 v5, v8, 20, 11
	v_and_or_b32 v0, v1, s16, v0
	v_sub_u32_e32 v7, 0x3f1, v5
	v_or_b32_e32 v1, 0x1000, v0
	v_med3_i32 v7, v7, 0, 13
	v_lshrrev_b32_e32 v11, v7, v1
	v_lshlrev_b32_e32 v7, v7, v11
	v_cmp_ne_u32_e32 vcc, v7, v1
	v_cndmask_b32_e64 v1, 0, 1, vcc
	v_add_u32_e32 v5, 0xfffffc10, v5
	v_or_b32_e32 v1, v11, v1
	v_lshl_or_b32 v7, v5, 12, v0
	v_cmp_gt_i32_e32 vcc, 1, v5
	v_cndmask_b32_e32 v1, v7, v1, vcc
	v_and_b32_e32 v7, 7, v1
	v_cmp_lt_i32_e32 vcc, 5, v7
	v_cmp_eq_u32_e64 s[2:3], 3, v7
	v_lshrrev_b32_e32 v1, 2, v1
	s_or_b64 vcc, s[2:3], vcc
	v_addc_co_u32_e32 v1, vcc, 0, v1, vcc
	v_cmp_gt_i32_e32 vcc, 31, v5
	v_lshrrev_b32_e32 v11, 16, v6
	v_cndmask_b32_e32 v7, v9, v1, vcc
	s_waitcnt vmcnt(1)
	v_mul_f16_sdwa v1, v13, v11 dst_sel:DWORD dst_unused:UNUSED_PAD src0_sel:WORD_1 src1_sel:DWORD
	v_fma_f16 v1, v13, v6, v1
	v_cvt_f32_f16_e32 v1, v1
	v_cmp_ne_u32_e32 vcc, 0, v0
	v_cndmask_b32_e64 v0, 0, 1, vcc
	v_lshl_or_b32 v12, v0, 9, v9
	v_cvt_f64_f32_e32 v[0:1], v1
	v_cmp_eq_u32_e32 vcc, s17, v5
	v_cndmask_b32_e32 v5, v7, v12, vcc
	v_lshrrev_b32_e32 v7, 16, v8
	v_mul_f64 v[0:1], v[0:1], s[14:15]
	v_and_or_b32 v5, v7, s18, v5
	v_and_b32_e32 v2, 0xffff, v2
	v_lshl_or_b32 v5, v5, 16, v2
	v_add_co_u32_e32 v2, vcc, s10, v3
	v_addc_co_u32_e32 v3, vcc, v4, v10, vcc
	v_and_or_b32 v0, v1, s19, v0
	v_cmp_ne_u32_e32 vcc, 0, v0
	global_store_dword v[2:3], v5, off
	v_cndmask_b32_e64 v0, 0, 1, vcc
	v_lshrrev_b32_e32 v4, 8, v1
	v_bfe_u32 v5, v1, 20, 11
	v_and_or_b32 v0, v4, s16, v0
	v_sub_u32_e32 v7, 0x3f1, v5
	v_or_b32_e32 v4, 0x1000, v0
	v_med3_i32 v7, v7, 0, 13
	v_lshrrev_b32_e32 v8, v7, v4
	v_lshlrev_b32_e32 v7, v7, v8
	v_mul_f16_sdwa v6, v13, v6 dst_sel:DWORD dst_unused:UNUSED_PAD src0_sel:WORD_1 src1_sel:DWORD
	v_cmp_ne_u32_e32 vcc, v7, v4
	v_fma_f16 v6, v13, v11, -v6
	v_cndmask_b32_e64 v4, 0, 1, vcc
	v_add_u32_e32 v7, 0xfffffc10, v5
	v_cvt_f32_f16_e32 v6, v6
	v_or_b32_e32 v4, v8, v4
	v_lshl_or_b32 v5, v7, 12, v0
	v_cmp_gt_i32_e32 vcc, 1, v7
	v_cndmask_b32_e32 v4, v5, v4, vcc
	v_and_b32_e32 v5, 7, v4
	v_cmp_lt_i32_e32 vcc, 5, v5
	v_cmp_eq_u32_e64 s[2:3], 3, v5
	v_lshrrev_b32_e32 v8, 2, v4
	v_cvt_f64_f32_e32 v[4:5], v6
	s_or_b64 vcc, s[2:3], vcc
	v_addc_co_u32_e32 v6, vcc, 0, v8, vcc
	v_mul_f64 v[4:5], v[4:5], s[14:15]
	v_cmp_gt_i32_e32 vcc, 31, v7
	v_cndmask_b32_e32 v6, v9, v6, vcc
	v_cmp_ne_u32_e32 vcc, 0, v0
	v_cndmask_b32_e64 v0, 0, 1, vcc
	v_lshl_or_b32 v0, v0, 9, v9
	v_cmp_eq_u32_e32 vcc, s17, v7
	v_cndmask_b32_e32 v0, v6, v0, vcc
	v_lshrrev_b32_e32 v1, 16, v1
	v_and_or_b32 v0, v1, s18, v0
	v_and_or_b32 v1, v5, s19, v4
	v_cmp_ne_u32_e32 vcc, 0, v1
	v_cndmask_b32_e64 v1, 0, 1, vcc
	v_lshrrev_b32_e32 v4, 8, v5
	v_bfe_u32 v6, v5, 20, 11
	v_and_or_b32 v1, v4, s16, v1
	v_sub_u32_e32 v7, 0x3f1, v6
	v_or_b32_e32 v4, 0x1000, v1
	v_med3_i32 v7, v7, 0, 13
	v_lshrrev_b32_e32 v8, v7, v4
	v_lshlrev_b32_e32 v7, v7, v8
	v_cmp_ne_u32_e32 vcc, v7, v4
	v_cndmask_b32_e64 v4, 0, 1, vcc
	v_add_u32_e32 v6, 0xfffffc10, v6
	v_or_b32_e32 v4, v8, v4
	v_lshl_or_b32 v7, v6, 12, v1
	v_cmp_gt_i32_e32 vcc, 1, v6
	v_cndmask_b32_e32 v4, v7, v4, vcc
	v_and_b32_e32 v7, 7, v4
	v_cmp_lt_i32_e32 vcc, 5, v7
	v_cmp_eq_u32_e64 s[2:3], 3, v7
	v_lshrrev_b32_e32 v4, 2, v4
	s_or_b64 vcc, s[2:3], vcc
	v_addc_co_u32_e32 v4, vcc, 0, v4, vcc
	v_cmp_gt_i32_e32 vcc, 31, v6
	v_cndmask_b32_e32 v4, v9, v4, vcc
	v_cmp_ne_u32_e32 vcc, 0, v1
	v_cndmask_b32_e64 v1, 0, 1, vcc
	v_lshl_or_b32 v1, v1, 9, v9
	v_cmp_eq_u32_e32 vcc, s17, v6
	v_cndmask_b32_e32 v1, v4, v1, vcc
	v_lshrrev_b32_e32 v4, 16, v5
	v_and_or_b32 v1, v4, s18, v1
	v_and_b32_e32 v0, 0xffff, v0
	v_lshl_or_b32 v4, v1, 16, v0
	v_add_co_u32_e32 v0, vcc, s10, v2
	v_addc_co_u32_e32 v1, vcc, v3, v10, vcc
	global_store_dword v[0:1], v4, off
	s_and_b64 exec, exec, s[0:1]
	s_cbranch_execz .LBB0_33
; %bb.32:
	buffer_load_dword v2, off, s[28:31], 0 offset:16 ; 4-byte Folded Reload
	buffer_load_dword v20, off, s[28:31], 0 offset:4 ; 4-byte Folded Reload
	v_mov_b32_e32 v8, s5
	v_add_co_u32_e32 v10, vcc, s4, v0
	v_addc_co_u32_e32 v11, vcc, v1, v8, vcc
	s_movk_i32 s0, 0x5000
	s_waitcnt vmcnt(1)
	global_load_dword v4, v2, s[6:7]
	ds_read2st64_b32 v[2:3], v70 offset0:40 offset1:82
	s_waitcnt lgkmcnt(0)
	v_lshrrev_b32_e32 v5, 16, v2
	s_waitcnt vmcnt(0)
	v_mul_f16_sdwa v6, v5, v4 dst_sel:DWORD dst_unused:UNUSED_PAD src0_sel:DWORD src1_sel:WORD_1
	v_fma_f16 v6, v2, v4, v6
	v_mul_f16_sdwa v2, v2, v4 dst_sel:DWORD dst_unused:UNUSED_PAD src0_sel:DWORD src1_sel:WORD_1
	v_cvt_f32_f16_e32 v6, v6
	v_fma_f16 v2, v4, v5, -v2
	v_cvt_f32_f16_e32 v2, v2
	v_cvt_f64_f32_e32 v[4:5], v6
	v_cvt_f64_f32_e32 v[6:7], v2
	v_mul_f64 v[4:5], v[4:5], s[14:15]
	v_mul_f64 v[0:1], v[6:7], s[14:15]
	v_add_co_u32_e32 v6, vcc, s0, v20
	v_addc_co_u32_e32 v7, vcc, 0, v69, vcc
	v_and_or_b32 v2, v5, s19, v4
	v_cmp_ne_u32_e32 vcc, 0, v2
	v_and_or_b32 v0, v1, s19, v0
	v_lshrrev_b32_e32 v4, 8, v5
	v_bfe_u32 v8, v5, 20, 11
	v_cndmask_b32_e64 v2, 0, 1, vcc
	v_cmp_ne_u32_e32 vcc, 0, v0
	v_lshrrev_b32_e32 v12, 8, v1
	v_bfe_u32 v13, v1, 20, 11
	v_sub_u32_e32 v14, 0x3f1, v8
	v_cndmask_b32_e64 v0, 0, 1, vcc
	v_and_or_b32 v2, v4, s16, v2
	v_sub_u32_e32 v15, 0x3f1, v13
	v_med3_i32 v4, v14, 0, 13
	v_and_or_b32 v0, v12, s16, v0
	v_or_b32_e32 v14, 0x1000, v2
	v_add_u32_e32 v8, 0xfffffc10, v8
	v_med3_i32 v12, v15, 0, 13
	v_cmp_ne_u32_e32 vcc, 0, v2
	v_or_b32_e32 v16, 0x1000, v0
	v_lshrrev_b32_e32 v18, v4, v14
	v_add_u32_e32 v13, 0xfffffc10, v13
	v_lshl_or_b32 v15, v8, 12, v2
	v_cndmask_b32_e64 v2, 0, 1, vcc
	v_cmp_ne_u32_e32 vcc, 0, v0
	v_lshrrev_b32_e32 v19, v12, v16
	v_lshlrev_b32_e32 v4, v4, v18
	v_lshl_or_b32 v17, v13, 12, v0
	v_cndmask_b32_e64 v0, 0, 1, vcc
	v_lshlrev_b32_e32 v12, v12, v19
	v_cmp_ne_u32_e32 vcc, v4, v14
	v_cndmask_b32_e64 v4, 0, 1, vcc
	v_cmp_ne_u32_e32 vcc, v12, v16
	v_cndmask_b32_e64 v12, 0, 1, vcc
	v_or_b32_e32 v4, v18, v4
	v_cmp_gt_i32_e32 vcc, 1, v8
	v_cndmask_b32_e32 v4, v15, v4, vcc
	v_or_b32_e32 v12, v19, v12
	v_cmp_gt_i32_e32 vcc, 1, v13
	v_and_b32_e32 v14, 7, v4
	v_cndmask_b32_e32 v12, v17, v12, vcc
	v_cmp_lt_i32_e32 vcc, 5, v14
	v_cmp_eq_u32_e64 s[0:1], 3, v14
	v_lshrrev_b32_e32 v4, 2, v4
	v_and_b32_e32 v15, 7, v12
	s_or_b64 vcc, s[0:1], vcc
	v_cmp_lt_i32_e64 s[2:3], 5, v15
	v_cmp_eq_u32_e64 s[4:5], 3, v15
	v_addc_co_u32_e32 v4, vcc, 0, v4, vcc
	v_lshrrev_b32_e32 v12, 2, v12
	s_or_b64 vcc, s[4:5], s[2:3]
	v_addc_co_u32_e32 v12, vcc, 0, v12, vcc
	v_cmp_gt_i32_e32 vcc, 31, v8
	v_cndmask_b32_e32 v4, v9, v4, vcc
	v_cmp_gt_i32_e32 vcc, 31, v13
	v_lshl_or_b32 v2, v2, 9, v9
	v_cndmask_b32_e32 v12, v9, v12, vcc
	v_cmp_eq_u32_e32 vcc, s17, v8
	v_lshrrev_b32_e32 v5, 16, v5
	v_lshl_or_b32 v0, v0, 9, v9
	v_cndmask_b32_e32 v2, v4, v2, vcc
	v_cmp_eq_u32_e32 vcc, s17, v13
	v_lshrrev_b32_e32 v1, 16, v1
	v_cndmask_b32_e32 v0, v12, v0, vcc
	v_and_or_b32 v2, v5, s18, v2
	v_and_or_b32 v0, v1, s18, v0
	v_and_b32_e32 v1, 0xffff, v2
	v_lshl_or_b32 v0, v0, 16, v1
	global_store_dword v[10:11], v0, off
	global_load_dword v0, v[6:7], off offset:512
	v_lshrrev_b32_e32 v1, 16, v3
	s_movk_i32 s0, 0x7000
	v_add_co_u32_e32 v5, vcc, s0, v20
	v_addc_co_u32_e32 v6, vcc, 0, v69, vcc
	v_add_co_u32_e32 v7, vcc, s10, v10
	s_waitcnt vmcnt(0)
	v_mul_f16_sdwa v2, v1, v0 dst_sel:DWORD dst_unused:UNUSED_PAD src0_sel:DWORD src1_sel:WORD_1
	v_fma_f16 v2, v3, v0, v2
	v_mul_f16_sdwa v3, v3, v0 dst_sel:DWORD dst_unused:UNUSED_PAD src0_sel:DWORD src1_sel:WORD_1
	v_cvt_f32_f16_e32 v2, v2
	v_fma_f16 v0, v0, v1, -v3
	v_cvt_f32_f16_e32 v3, v0
	v_mov_b32_e32 v0, s11
	v_cvt_f64_f32_e32 v[1:2], v2
	v_addc_co_u32_e32 v8, vcc, v11, v0, vcc
	v_cvt_f64_f32_e32 v[3:4], v3
	v_mul_f64 v[1:2], v[1:2], s[14:15]
	v_mul_f64 v[3:4], v[3:4], s[14:15]
	v_and_or_b32 v1, v2, s19, v1
	v_cmp_ne_u32_e32 vcc, 0, v1
	v_lshrrev_b32_e32 v10, 8, v2
	v_and_or_b32 v3, v4, s19, v3
	v_bfe_u32 v11, v2, 20, 11
	v_cndmask_b32_e64 v1, 0, 1, vcc
	v_cmp_ne_u32_e32 vcc, 0, v3
	v_lshrrev_b32_e32 v12, 8, v4
	v_bfe_u32 v13, v4, 20, 11
	v_sub_u32_e32 v14, 0x3f1, v11
	v_cndmask_b32_e64 v3, 0, 1, vcc
	v_and_or_b32 v1, v10, s16, v1
	v_sub_u32_e32 v15, 0x3f1, v13
	v_med3_i32 v10, v14, 0, 13
	v_and_or_b32 v3, v12, s16, v3
	v_or_b32_e32 v14, 0x1000, v1
	v_add_u32_e32 v11, 0xfffffc10, v11
	v_med3_i32 v12, v15, 0, 13
	v_cmp_ne_u32_e32 vcc, 0, v1
	v_or_b32_e32 v16, 0x1000, v3
	v_lshrrev_b32_e32 v18, v10, v14
	v_add_u32_e32 v13, 0xfffffc10, v13
	v_lshl_or_b32 v15, v11, 12, v1
	v_cndmask_b32_e64 v1, 0, 1, vcc
	v_cmp_ne_u32_e32 vcc, 0, v3
	v_lshrrev_b32_e32 v19, v12, v16
	v_lshlrev_b32_e32 v10, v10, v18
	v_lshl_or_b32 v17, v13, 12, v3
	v_cndmask_b32_e64 v3, 0, 1, vcc
	v_lshlrev_b32_e32 v12, v12, v19
	v_cmp_ne_u32_e32 vcc, v10, v14
	v_cndmask_b32_e64 v10, 0, 1, vcc
	v_cmp_ne_u32_e32 vcc, v12, v16
	v_cndmask_b32_e64 v12, 0, 1, vcc
	v_or_b32_e32 v10, v18, v10
	v_cmp_gt_i32_e32 vcc, 1, v11
	v_cndmask_b32_e32 v10, v15, v10, vcc
	v_or_b32_e32 v12, v19, v12
	v_cmp_gt_i32_e32 vcc, 1, v13
	v_and_b32_e32 v14, 7, v10
	v_cndmask_b32_e32 v12, v17, v12, vcc
	v_cmp_lt_i32_e32 vcc, 5, v14
	v_cmp_eq_u32_e64 s[0:1], 3, v14
	v_lshrrev_b32_e32 v10, 2, v10
	v_and_b32_e32 v15, 7, v12
	s_or_b64 vcc, s[0:1], vcc
	v_cmp_lt_i32_e64 s[2:3], 5, v15
	v_cmp_eq_u32_e64 s[4:5], 3, v15
	v_addc_co_u32_e32 v10, vcc, 0, v10, vcc
	v_lshrrev_b32_e32 v12, 2, v12
	s_or_b64 vcc, s[4:5], s[2:3]
	v_addc_co_u32_e32 v12, vcc, 0, v12, vcc
	v_cmp_gt_i32_e32 vcc, 31, v11
	v_cndmask_b32_e32 v10, v9, v10, vcc
	v_cmp_gt_i32_e32 vcc, 31, v13
	v_lshl_or_b32 v1, v1, 9, v9
	v_cndmask_b32_e32 v12, v9, v12, vcc
	v_cmp_eq_u32_e32 vcc, s17, v11
	v_lshrrev_b32_e32 v2, 16, v2
	v_lshl_or_b32 v3, v3, 9, v9
	v_cndmask_b32_e32 v1, v10, v1, vcc
	v_cmp_eq_u32_e32 vcc, s17, v13
	v_lshrrev_b32_e32 v4, 16, v4
	v_cndmask_b32_e32 v3, v12, v3, vcc
	v_and_or_b32 v1, v2, s18, v1
	v_and_or_b32 v2, v4, s18, v3
	v_and_b32_e32 v1, 0xffff, v1
	v_lshl_or_b32 v1, v2, 16, v1
	global_store_dword v[7:8], v1, off
	global_load_dword v3, v[5:6], off offset:3072
	ds_read2st64_b32 v[1:2], v70 offset0:124 offset1:166
	s_mov_b32 s0, 0xa000
	v_add_co_u32_e32 v10, vcc, s0, v20
	v_addc_co_u32_e32 v11, vcc, 0, v69, vcc
	s_waitcnt lgkmcnt(0)
	v_lshrrev_b32_e32 v4, 16, v1
	v_add_co_u32_e32 v7, vcc, s10, v7
	v_addc_co_u32_e32 v8, vcc, v8, v0, vcc
	s_waitcnt vmcnt(0)
	v_mul_f16_sdwa v5, v4, v3 dst_sel:DWORD dst_unused:UNUSED_PAD src0_sel:DWORD src1_sel:WORD_1
	v_fma_f16 v5, v1, v3, v5
	v_mul_f16_sdwa v1, v1, v3 dst_sel:DWORD dst_unused:UNUSED_PAD src0_sel:DWORD src1_sel:WORD_1
	v_cvt_f32_f16_e32 v5, v5
	v_fma_f16 v1, v3, v4, -v1
	v_cvt_f32_f16_e32 v1, v1
	v_cvt_f64_f32_e32 v[3:4], v5
	v_cvt_f64_f32_e32 v[5:6], v1
	v_mul_f64 v[3:4], v[3:4], s[14:15]
	v_mul_f64 v[5:6], v[5:6], s[14:15]
	v_and_or_b32 v1, v4, s19, v3
	v_cmp_ne_u32_e32 vcc, 0, v1
	v_and_or_b32 v5, v6, s19, v5
	v_lshrrev_b32_e32 v3, 8, v4
	v_bfe_u32 v12, v4, 20, 11
	v_cndmask_b32_e64 v1, 0, 1, vcc
	v_cmp_ne_u32_e32 vcc, 0, v5
	v_lshrrev_b32_e32 v13, 8, v6
	v_bfe_u32 v14, v6, 20, 11
	v_sub_u32_e32 v15, 0x3f1, v12
	v_cndmask_b32_e64 v5, 0, 1, vcc
	v_and_or_b32 v1, v3, s16, v1
	v_sub_u32_e32 v16, 0x3f1, v14
	v_med3_i32 v3, v15, 0, 13
	v_and_or_b32 v5, v13, s16, v5
	v_or_b32_e32 v15, 0x1000, v1
	v_add_u32_e32 v12, 0xfffffc10, v12
	v_med3_i32 v13, v16, 0, 13
	v_cmp_ne_u32_e32 vcc, 0, v1
	v_or_b32_e32 v17, 0x1000, v5
	v_lshrrev_b32_e32 v19, v3, v15
	v_add_u32_e32 v14, 0xfffffc10, v14
	v_lshl_or_b32 v16, v12, 12, v1
	v_cndmask_b32_e64 v1, 0, 1, vcc
	v_cmp_ne_u32_e32 vcc, 0, v5
	v_lshrrev_b32_e32 v20, v13, v17
	v_lshlrev_b32_e32 v3, v3, v19
	v_lshl_or_b32 v18, v14, 12, v5
	v_cndmask_b32_e64 v5, 0, 1, vcc
	v_lshlrev_b32_e32 v13, v13, v20
	v_cmp_ne_u32_e32 vcc, v3, v15
	v_cndmask_b32_e64 v3, 0, 1, vcc
	v_cmp_ne_u32_e32 vcc, v13, v17
	v_cndmask_b32_e64 v13, 0, 1, vcc
	v_or_b32_e32 v3, v19, v3
	v_cmp_gt_i32_e32 vcc, 1, v12
	v_cndmask_b32_e32 v3, v16, v3, vcc
	v_or_b32_e32 v13, v20, v13
	v_cmp_gt_i32_e32 vcc, 1, v14
	v_and_b32_e32 v15, 7, v3
	v_cndmask_b32_e32 v13, v18, v13, vcc
	v_cmp_lt_i32_e32 vcc, 5, v15
	v_cmp_eq_u32_e64 s[0:1], 3, v15
	v_lshrrev_b32_e32 v3, 2, v3
	v_and_b32_e32 v16, 7, v13
	s_or_b64 vcc, s[0:1], vcc
	v_cmp_lt_i32_e64 s[2:3], 5, v16
	v_cmp_eq_u32_e64 s[4:5], 3, v16
	v_addc_co_u32_e32 v3, vcc, 0, v3, vcc
	v_lshrrev_b32_e32 v13, 2, v13
	s_or_b64 vcc, s[4:5], s[2:3]
	v_addc_co_u32_e32 v13, vcc, 0, v13, vcc
	v_cmp_gt_i32_e32 vcc, 31, v12
	v_cndmask_b32_e32 v3, v9, v3, vcc
	v_cmp_gt_i32_e32 vcc, 31, v14
	v_lshl_or_b32 v1, v1, 9, v9
	v_cndmask_b32_e32 v13, v9, v13, vcc
	v_cmp_eq_u32_e32 vcc, s17, v12
	v_lshrrev_b32_e32 v4, 16, v4
	v_lshl_or_b32 v5, v5, 9, v9
	v_cndmask_b32_e32 v1, v3, v1, vcc
	v_cmp_eq_u32_e32 vcc, s17, v14
	v_lshrrev_b32_e32 v6, 16, v6
	v_cndmask_b32_e32 v3, v13, v5, vcc
	v_and_or_b32 v1, v4, s18, v1
	v_and_or_b32 v3, v6, s18, v3
	v_and_b32_e32 v1, 0xffff, v1
	v_lshl_or_b32 v1, v3, 16, v1
	global_store_dword v[7:8], v1, off
	global_load_dword v1, v[10:11], off offset:1536
	v_lshrrev_b32_e32 v3, 16, v2
	s_waitcnt vmcnt(0)
	v_mul_f16_sdwa v4, v3, v1 dst_sel:DWORD dst_unused:UNUSED_PAD src0_sel:DWORD src1_sel:WORD_1
	v_fma_f16 v4, v2, v1, v4
	v_mul_f16_sdwa v2, v2, v1 dst_sel:DWORD dst_unused:UNUSED_PAD src0_sel:DWORD src1_sel:WORD_1
	v_cvt_f32_f16_e32 v4, v4
	v_fma_f16 v1, v1, v3, -v2
	v_cvt_f32_f16_e32 v3, v1
	v_cvt_f64_f32_e32 v[1:2], v4
	v_cvt_f64_f32_e32 v[3:4], v3
	v_mul_f64 v[1:2], v[1:2], s[14:15]
	v_mul_f64 v[3:4], v[3:4], s[14:15]
	v_and_or_b32 v1, v2, s19, v1
	v_cmp_ne_u32_e32 vcc, 0, v1
	v_and_or_b32 v3, v4, s19, v3
	v_lshrrev_b32_e32 v5, 8, v2
	v_bfe_u32 v6, v2, 20, 11
	v_cndmask_b32_e64 v1, 0, 1, vcc
	v_cmp_ne_u32_e32 vcc, 0, v3
	v_lshrrev_b32_e32 v10, 8, v4
	v_bfe_u32 v11, v4, 20, 11
	v_sub_u32_e32 v12, 0x3f1, v6
	v_cndmask_b32_e64 v3, 0, 1, vcc
	v_and_or_b32 v1, v5, s16, v1
	v_sub_u32_e32 v13, 0x3f1, v11
	v_med3_i32 v5, v12, 0, 13
	v_and_or_b32 v3, v10, s16, v3
	v_or_b32_e32 v12, 0x1000, v1
	v_add_u32_e32 v6, 0xfffffc10, v6
	v_med3_i32 v10, v13, 0, 13
	v_cmp_ne_u32_e32 vcc, 0, v1
	v_or_b32_e32 v14, 0x1000, v3
	v_lshrrev_b32_e32 v16, v5, v12
	v_add_u32_e32 v11, 0xfffffc10, v11
	v_lshl_or_b32 v13, v6, 12, v1
	v_cndmask_b32_e64 v1, 0, 1, vcc
	v_cmp_ne_u32_e32 vcc, 0, v3
	v_lshrrev_b32_e32 v17, v10, v14
	v_lshlrev_b32_e32 v5, v5, v16
	v_lshl_or_b32 v15, v11, 12, v3
	v_cndmask_b32_e64 v3, 0, 1, vcc
	v_lshlrev_b32_e32 v10, v10, v17
	v_cmp_ne_u32_e32 vcc, v5, v12
	v_cndmask_b32_e64 v5, 0, 1, vcc
	v_cmp_ne_u32_e32 vcc, v10, v14
	v_cndmask_b32_e64 v10, 0, 1, vcc
	v_or_b32_e32 v5, v16, v5
	v_cmp_gt_i32_e32 vcc, 1, v6
	v_cndmask_b32_e32 v5, v13, v5, vcc
	v_or_b32_e32 v10, v17, v10
	v_cmp_gt_i32_e32 vcc, 1, v11
	v_and_b32_e32 v12, 7, v5
	v_cndmask_b32_e32 v10, v15, v10, vcc
	v_cmp_lt_i32_e32 vcc, 5, v12
	v_cmp_eq_u32_e64 s[0:1], 3, v12
	v_lshrrev_b32_e32 v5, 2, v5
	v_and_b32_e32 v13, 7, v10
	s_or_b64 vcc, s[0:1], vcc
	v_cmp_lt_i32_e64 s[2:3], 5, v13
	v_cmp_eq_u32_e64 s[4:5], 3, v13
	v_addc_co_u32_e32 v5, vcc, 0, v5, vcc
	v_lshrrev_b32_e32 v10, 2, v10
	s_or_b64 vcc, s[4:5], s[2:3]
	v_addc_co_u32_e32 v10, vcc, 0, v10, vcc
	v_cmp_gt_i32_e32 vcc, 31, v6
	v_cndmask_b32_e32 v5, v9, v5, vcc
	v_cmp_gt_i32_e32 vcc, 31, v11
	v_lshl_or_b32 v1, v1, 9, v9
	v_lshl_or_b32 v3, v3, 9, v9
	v_cndmask_b32_e32 v9, v9, v10, vcc
	v_cmp_eq_u32_e32 vcc, s17, v6
	v_lshrrev_b32_e32 v2, 16, v2
	v_cndmask_b32_e32 v1, v5, v1, vcc
	v_cmp_eq_u32_e32 vcc, s17, v11
	v_lshrrev_b32_e32 v4, 16, v4
	v_cndmask_b32_e32 v3, v9, v3, vcc
	v_and_or_b32 v1, v2, s18, v1
	v_and_or_b32 v2, v4, s18, v3
	v_and_b32_e32 v1, 0xffff, v1
	v_lshl_or_b32 v3, v2, 16, v1
	v_add_co_u32_e32 v1, vcc, s10, v7
	v_addc_co_u32_e32 v2, vcc, v8, v0, vcc
	global_store_dword v[1:2], v3, off
.LBB0_33:
	s_endpgm
	.section	.rodata,"a",@progbits
	.p2align	6, 0x0
	.amdhsa_kernel bluestein_single_back_len10752_dim1_half_op_CI_CI
		.amdhsa_group_segment_fixed_size 43008
		.amdhsa_private_segment_fixed_size 96
		.amdhsa_kernarg_size 104
		.amdhsa_user_sgpr_count 6
		.amdhsa_user_sgpr_private_segment_buffer 1
		.amdhsa_user_sgpr_dispatch_ptr 0
		.amdhsa_user_sgpr_queue_ptr 0
		.amdhsa_user_sgpr_kernarg_segment_ptr 1
		.amdhsa_user_sgpr_dispatch_id 0
		.amdhsa_user_sgpr_flat_scratch_init 0
		.amdhsa_user_sgpr_private_segment_size 0
		.amdhsa_uses_dynamic_stack 0
		.amdhsa_system_sgpr_private_segment_wavefront_offset 1
		.amdhsa_system_sgpr_workgroup_id_x 1
		.amdhsa_system_sgpr_workgroup_id_y 0
		.amdhsa_system_sgpr_workgroup_id_z 0
		.amdhsa_system_sgpr_workgroup_info 0
		.amdhsa_system_vgpr_workitem_id 0
		.amdhsa_next_free_vgpr 128
		.amdhsa_next_free_sgpr 32
		.amdhsa_reserve_vcc 1
		.amdhsa_reserve_flat_scratch 0
		.amdhsa_float_round_mode_32 0
		.amdhsa_float_round_mode_16_64 0
		.amdhsa_float_denorm_mode_32 3
		.amdhsa_float_denorm_mode_16_64 3
		.amdhsa_dx10_clamp 1
		.amdhsa_ieee_mode 1
		.amdhsa_fp16_overflow 0
		.amdhsa_exception_fp_ieee_invalid_op 0
		.amdhsa_exception_fp_denorm_src 0
		.amdhsa_exception_fp_ieee_div_zero 0
		.amdhsa_exception_fp_ieee_overflow 0
		.amdhsa_exception_fp_ieee_underflow 0
		.amdhsa_exception_fp_ieee_inexact 0
		.amdhsa_exception_int_div_zero 0
	.end_amdhsa_kernel
	.text
.Lfunc_end0:
	.size	bluestein_single_back_len10752_dim1_half_op_CI_CI, .Lfunc_end0-bluestein_single_back_len10752_dim1_half_op_CI_CI
                                        ; -- End function
	.section	.AMDGPU.csdata,"",@progbits
; Kernel info:
; codeLenInByte = 39028
; NumSgprs: 36
; NumVgprs: 128
; ScratchSize: 96
; MemoryBound: 0
; FloatMode: 240
; IeeeMode: 1
; LDSByteSize: 43008 bytes/workgroup (compile time only)
; SGPRBlocks: 4
; VGPRBlocks: 31
; NumSGPRsForWavesPerEU: 36
; NumVGPRsForWavesPerEU: 128
; Occupancy: 2
; WaveLimiterHint : 1
; COMPUTE_PGM_RSRC2:SCRATCH_EN: 1
; COMPUTE_PGM_RSRC2:USER_SGPR: 6
; COMPUTE_PGM_RSRC2:TRAP_HANDLER: 0
; COMPUTE_PGM_RSRC2:TGID_X_EN: 1
; COMPUTE_PGM_RSRC2:TGID_Y_EN: 0
; COMPUTE_PGM_RSRC2:TGID_Z_EN: 0
; COMPUTE_PGM_RSRC2:TIDIG_COMP_CNT: 0
	.type	__hip_cuid_4f5ab5c9810a5f0a,@object ; @__hip_cuid_4f5ab5c9810a5f0a
	.section	.bss,"aw",@nobits
	.globl	__hip_cuid_4f5ab5c9810a5f0a
__hip_cuid_4f5ab5c9810a5f0a:
	.byte	0                               ; 0x0
	.size	__hip_cuid_4f5ab5c9810a5f0a, 1

	.ident	"AMD clang version 19.0.0git (https://github.com/RadeonOpenCompute/llvm-project roc-6.4.0 25133 c7fe45cf4b819c5991fe208aaa96edf142730f1d)"
	.section	".note.GNU-stack","",@progbits
	.addrsig
	.addrsig_sym __hip_cuid_4f5ab5c9810a5f0a
	.amdgpu_metadata
---
amdhsa.kernels:
  - .args:
      - .actual_access:  read_only
        .address_space:  global
        .offset:         0
        .size:           8
        .value_kind:     global_buffer
      - .actual_access:  read_only
        .address_space:  global
        .offset:         8
        .size:           8
        .value_kind:     global_buffer
      - .actual_access:  read_only
        .address_space:  global
        .offset:         16
        .size:           8
        .value_kind:     global_buffer
      - .actual_access:  read_only
        .address_space:  global
        .offset:         24
        .size:           8
        .value_kind:     global_buffer
      - .actual_access:  read_only
        .address_space:  global
        .offset:         32
        .size:           8
        .value_kind:     global_buffer
      - .offset:         40
        .size:           8
        .value_kind:     by_value
      - .address_space:  global
        .offset:         48
        .size:           8
        .value_kind:     global_buffer
      - .address_space:  global
        .offset:         56
        .size:           8
        .value_kind:     global_buffer
      - .address_space:  global
        .offset:         64
        .size:           8
        .value_kind:     global_buffer
      - .address_space:  global
        .offset:         72
        .size:           8
        .value_kind:     global_buffer
      - .offset:         80
        .size:           4
        .value_kind:     by_value
      - .address_space:  global
        .offset:         88
        .size:           8
        .value_kind:     global_buffer
      - .address_space:  global
        .offset:         96
        .size:           8
        .value_kind:     global_buffer
    .group_segment_fixed_size: 43008
    .kernarg_segment_align: 8
    .kernarg_segment_size: 104
    .language:       OpenCL C
    .language_version:
      - 2
      - 0
    .max_flat_workgroup_size: 512
    .name:           bluestein_single_back_len10752_dim1_half_op_CI_CI
    .private_segment_fixed_size: 96
    .sgpr_count:     36
    .sgpr_spill_count: 0
    .symbol:         bluestein_single_back_len10752_dim1_half_op_CI_CI.kd
    .uniform_work_group_size: 1
    .uses_dynamic_stack: false
    .vgpr_count:     128
    .vgpr_spill_count: 23
    .wavefront_size: 64
amdhsa.target:   amdgcn-amd-amdhsa--gfx906
amdhsa.version:
  - 1
  - 2
...

	.end_amdgpu_metadata
